;; amdgpu-corpus repo=ROCm/rocFFT kind=compiled arch=gfx906 opt=O3
	.text
	.amdgcn_target "amdgcn-amd-amdhsa--gfx906"
	.amdhsa_code_object_version 6
	.protected	bluestein_single_fwd_len1190_dim1_dp_op_CI_CI ; -- Begin function bluestein_single_fwd_len1190_dim1_dp_op_CI_CI
	.globl	bluestein_single_fwd_len1190_dim1_dp_op_CI_CI
	.p2align	8
	.type	bluestein_single_fwd_len1190_dim1_dp_op_CI_CI,@function
bluestein_single_fwd_len1190_dim1_dp_op_CI_CI: ; @bluestein_single_fwd_len1190_dim1_dp_op_CI_CI
; %bb.0:
	s_mov_b64 s[66:67], s[2:3]
	v_mul_u32_u24_e32 v1, 0x304, v0
	s_mov_b64 s[64:65], s[0:1]
	s_load_dwordx4 s[0:3], s[4:5], 0x28
	v_lshrrev_b32_e32 v1, 16, v1
	s_add_u32 s64, s64, s7
	v_mad_u64_u32 v[3:4], s[6:7], s6, 3, v[1:2]
	v_mov_b32_e32 v4, 0
	s_addc_u32 s65, s65, 0
	s_waitcnt lgkmcnt(0)
	v_cmp_gt_u64_e32 vcc, s[0:1], v[3:4]
	s_and_saveexec_b64 s[0:1], vcc
	s_cbranch_execz .LBB0_23
; %bb.1:
	s_mov_b32 s0, 0xaaaaaaab
	v_mul_hi_u32 v2, v3, s0
	v_mul_lo_u16_e32 v1, 0x55, v1
	s_load_dwordx2 s[12:13], s[4:5], 0x0
	s_load_dwordx2 s[14:15], s[4:5], 0x38
	v_sub_u16_e32 v4, v0, v1
	v_lshrrev_b32_e32 v0, 1, v2
	v_lshl_add_u32 v0, v0, 1, v0
	v_sub_u32_e32 v0, v3, v0
	v_mul_u32_u24_e32 v224, 0x4a6, v0
	s_movk_i32 s0, 0x46
	v_mov_b32_e32 v1, v3
	v_cmp_gt_u16_e64 s[0:1], s0, v4
	v_lshlrev_b32_e32 v0, 4, v224
	buffer_store_dword v1, off, s[64:67], 0 offset:40 ; 4-byte Folded Spill
	s_nop 0
	buffer_store_dword v2, off, s[64:67], 0 offset:44 ; 4-byte Folded Spill
	buffer_store_dword v4, off, s[64:67], 0 ; 4-byte Folded Spill
	buffer_store_dword v0, off, s[64:67], 0 offset:36 ; 4-byte Folded Spill
	s_and_saveexec_b64 s[6:7], s[0:1]
	s_cbranch_execz .LBB0_3
; %bb.2:
	s_load_dwordx2 s[8:9], s[4:5], 0x18
	s_waitcnt lgkmcnt(0)
	v_mov_b32_e32 v20, s13
	s_load_dwordx4 s[8:11], s[8:9], 0x0
	buffer_load_dword v0, off, s[64:67], 0 offset:40 ; 4-byte Folded Reload
	buffer_load_dword v1, off, s[64:67], 0 offset:44 ; 4-byte Folded Reload
	buffer_load_dword v141, off, s[64:67], 0 ; 4-byte Folded Reload
	s_waitcnt vmcnt(2)
	v_mov_b32_e32 v4, v0
	s_waitcnt vmcnt(1) lgkmcnt(0)
	v_mad_u64_u32 v[0:1], s[16:17], s10, v4, 0
	s_waitcnt vmcnt(0)
	v_mad_u64_u32 v[2:3], s[16:17], s8, v141, 0
	v_lshlrev_b32_e32 v140, 4, v141
	v_mad_u64_u32 v[4:5], s[10:11], s11, v4, v[1:2]
	v_mad_u64_u32 v[5:6], s[10:11], s9, v141, v[3:4]
	v_mov_b32_e32 v1, v4
	v_lshlrev_b64 v[0:1], 4, v[0:1]
	v_mov_b32_e32 v3, v5
	v_mov_b32_e32 v6, s3
	v_lshlrev_b64 v[2:3], 4, v[2:3]
	v_add_co_u32_e32 v0, vcc, s2, v0
	v_addc_co_u32_e32 v1, vcc, v6, v1, vcc
	v_add_co_u32_e32 v36, vcc, v0, v2
	v_addc_co_u32_e32 v37, vcc, v1, v3, vcc
	global_load_dwordx4 v[0:3], v140, s[12:13]
	global_load_dwordx4 v[4:7], v[36:37], off
	v_add_co_u32_e32 v126, vcc, s12, v140
	s_movk_i32 s2, 0x1000
	s_movk_i32 s3, 0x2000
	v_addc_co_u32_e32 v127, vcc, 0, v20, vcc
	v_add_co_u32_e32 v38, vcc, s2, v126
	v_add_co_u32_e64 v88, s[2:3], s3, v126
	v_addc_co_u32_e32 v39, vcc, 0, v127, vcc
	v_addc_co_u32_e64 v89, vcc, 0, v127, s[2:3]
	s_mul_i32 s3, s9, 0x460
	s_mul_hi_u32 s9, s8, 0x460
	s_mul_i32 s2, s8, 0x460
	s_add_i32 s3, s9, s3
	global_load_dwordx4 v[8:11], v140, s[12:13] offset:1120
	global_load_dwordx4 v[12:15], v140, s[12:13] offset:2240
	;; [unrolled: 1-line block ×3, first 2 shown]
	global_load_dwordx4 v[20:23], v[38:39], off offset:384
	global_load_dwordx4 v[24:27], v[38:39], off offset:1504
	;; [unrolled: 1-line block ×4, first 2 shown]
	v_mov_b32_e32 v38, s3
	v_add_co_u32_e32 v39, vcc, s2, v36
	v_addc_co_u32_e32 v40, vcc, v37, v38, vcc
	v_mov_b32_e32 v42, s3
	v_add_co_u32_e32 v41, vcc, s2, v39
	v_addc_co_u32_e32 v42, vcc, v40, v42, vcc
	;; [unrolled: 3-line block ×4, first 2 shown]
	v_mov_b32_e32 v53, s3
	v_add_co_u32_e32 v55, vcc, s2, v51
	global_load_dwordx4 v[36:39], v[39:40], off
	v_addc_co_u32_e32 v56, vcc, v52, v53, vcc
	global_load_dwordx4 v[44:47], v[47:48], off
	v_mov_b32_e32 v57, s3
	global_load_dwordx4 v[40:43], v[41:42], off
	v_add_co_u32_e32 v59, vcc, s2, v55
	global_load_dwordx4 v[48:51], v[51:52], off
	v_addc_co_u32_e32 v60, vcc, v56, v57, vcc
	v_mov_b32_e32 v61, s3
	v_add_co_u32_e32 v63, vcc, s2, v59
	v_addc_co_u32_e32 v64, vcc, v60, v61, vcc
	v_mov_b32_e32 v65, s3
	v_add_co_u32_e32 v67, vcc, s2, v63
	;; [unrolled: 3-line block ×3, first 2 shown]
	global_load_dwordx4 v[52:55], v[55:56], off
	v_addc_co_u32_e32 v81, vcc, v68, v69, vcc
	global_load_dwordx4 v[56:59], v[59:60], off
	v_mov_b32_e32 v82, s3
	v_add_co_u32_e32 v90, vcc, s2, v80
	global_load_dwordx4 v[60:63], v[63:64], off
	v_addc_co_u32_e32 v91, vcc, v81, v82, vcc
	global_load_dwordx4 v[64:67], v[67:68], off
	s_nop 0
	global_load_dwordx4 v[68:71], v[80:81], off
	global_load_dwordx4 v[72:75], v[88:89], off offset:768
	global_load_dwordx4 v[76:79], v[88:89], off offset:1888
	s_nop 0
	global_load_dwordx4 v[80:83], v[90:91], off
	global_load_dwordx4 v[84:87], v[88:89], off offset:3008
	v_mov_b32_e32 v88, s3
	v_add_co_u32_e32 v92, vcc, s2, v90
	v_addc_co_u32_e32 v93, vcc, v91, v88, vcc
	s_movk_i32 s8, 0x3000
	v_add_co_u32_e32 v116, vcc, s8, v126
	v_addc_co_u32_e32 v117, vcc, 0, v127, vcc
	v_mov_b32_e32 v94, s3
	v_add_co_u32_e32 v104, vcc, s2, v92
	v_addc_co_u32_e32 v105, vcc, v93, v94, vcc
	v_mov_b32_e32 v106, s3
	v_add_co_u32_e32 v108, vcc, s2, v104
	v_addc_co_u32_e32 v109, vcc, v105, v106, vcc
	v_mov_b32_e32 v110, s3
	v_add_co_u32_e32 v120, vcc, s2, v108
	v_addc_co_u32_e32 v121, vcc, v109, v110, vcc
	v_mov_b32_e32 v122, s3
	v_add_co_u32_e32 v124, vcc, s2, v120
	global_load_dwordx4 v[88:91], v[92:93], off
	v_addc_co_u32_e32 v125, vcc, v121, v122, vcc
	s_movk_i32 s8, 0x4000
	global_load_dwordx4 v[92:95], v[104:105], off
	global_load_dwordx4 v[96:99], v[116:117], off offset:32
	global_load_dwordx4 v[100:103], v[116:117], off offset:1152
	v_add_co_u32_e32 v132, vcc, s8, v126
	global_load_dwordx4 v[104:107], v[108:109], off
	v_addc_co_u32_e32 v133, vcc, 0, v127, vcc
	global_load_dwordx4 v[108:111], v[120:121], off
	global_load_dwordx4 v[112:115], v[116:117], off offset:2272
	s_nop 0
	global_load_dwordx4 v[116:119], v[116:117], off offset:3392
	v_mov_b32_e32 v126, s3
	v_add_co_u32_e32 v128, vcc, s2, v124
	global_load_dwordx4 v[120:123], v[124:125], off
	v_addc_co_u32_e32 v129, vcc, v125, v126, vcc
	global_load_dwordx4 v[124:127], v[132:133], off offset:416
	s_nop 0
	global_load_dwordx4 v[128:131], v[128:129], off
	s_nop 0
	global_load_dwordx4 v[132:135], v[132:133], off offset:1536
	s_waitcnt vmcnt(32)
	v_mul_f64 v[136:137], v[6:7], v[2:3]
	v_mul_f64 v[138:139], v[4:5], v[2:3]
	v_fma_f64 v[2:3], v[4:5], v[0:1], v[136:137]
	v_fma_f64 v[4:5], v[6:7], v[0:1], -v[138:139]
	v_lshlrev_b32_e32 v136, 4, v224
	v_lshl_add_u32 v6, v141, 4, v136
	s_waitcnt vmcnt(24)
	v_mul_f64 v[0:1], v[38:39], v[10:11]
	v_add_u32_e32 v136, v136, v140
	ds_write_b128 v6, v[2:5]
	v_mul_f64 v[2:3], v[36:37], v[10:11]
	s_waitcnt vmcnt(22)
	v_mul_f64 v[4:5], v[42:43], v[14:15]
	v_mul_f64 v[6:7], v[40:41], v[14:15]
	;; [unrolled: 1-line block ×4, first 2 shown]
	s_waitcnt vmcnt(21)
	v_mul_f64 v[18:19], v[50:51], v[22:23]
	v_mul_f64 v[22:23], v[48:49], v[22:23]
	v_fma_f64 v[0:1], v[36:37], v[8:9], v[0:1]
	v_fma_f64 v[2:3], v[38:39], v[8:9], -v[2:3]
	v_fma_f64 v[4:5], v[40:41], v[12:13], v[4:5]
	v_fma_f64 v[6:7], v[42:43], v[12:13], -v[6:7]
	;; [unrolled: 2-line block ×3, first 2 shown]
	v_fma_f64 v[12:13], v[48:49], v[20:21], v[18:19]
	s_waitcnt vmcnt(20)
	v_mul_f64 v[16:17], v[54:55], v[26:27]
	v_mul_f64 v[18:19], v[52:53], v[26:27]
	v_fma_f64 v[14:15], v[50:51], v[20:21], -v[22:23]
	s_waitcnt vmcnt(19)
	v_mul_f64 v[20:21], v[58:59], v[30:31]
	v_mul_f64 v[22:23], v[56:57], v[30:31]
	s_waitcnt vmcnt(18)
	v_mul_f64 v[26:27], v[62:63], v[34:35]
	v_mul_f64 v[30:31], v[60:61], v[34:35]
	;; [unrolled: 3-line block ×3, first 2 shown]
	v_fma_f64 v[16:17], v[52:53], v[24:25], v[16:17]
	v_fma_f64 v[18:19], v[54:55], v[24:25], -v[18:19]
	v_fma_f64 v[20:21], v[56:57], v[28:29], v[20:21]
	v_fma_f64 v[22:23], v[58:59], v[28:29], -v[22:23]
	;; [unrolled: 2-line block ×4, first 2 shown]
	ds_write_b128 v136, v[0:3] offset:1120
	ds_write_b128 v136, v[4:7] offset:2240
	;; [unrolled: 1-line block ×8, first 2 shown]
	s_waitcnt vmcnt(14)
	v_mul_f64 v[0:1], v[70:71], v[78:79]
	v_mul_f64 v[2:3], v[68:69], v[78:79]
	s_waitcnt vmcnt(12)
	v_mul_f64 v[4:5], v[82:83], v[86:87]
	v_mul_f64 v[6:7], v[80:81], v[86:87]
	v_fma_f64 v[0:1], v[68:69], v[76:77], v[0:1]
	v_fma_f64 v[2:3], v[70:71], v[76:77], -v[2:3]
	v_fma_f64 v[4:5], v[80:81], v[84:85], v[4:5]
	v_fma_f64 v[6:7], v[82:83], v[84:85], -v[6:7]
	s_waitcnt vmcnt(9)
	v_mul_f64 v[8:9], v[90:91], v[98:99]
	v_mul_f64 v[10:11], v[88:89], v[98:99]
	s_waitcnt vmcnt(8)
	v_mul_f64 v[12:13], v[94:95], v[102:103]
	v_mul_f64 v[14:15], v[92:93], v[102:103]
	;; [unrolled: 3-line block ×4, first 2 shown]
	v_fma_f64 v[8:9], v[88:89], v[96:97], v[8:9]
	v_fma_f64 v[10:11], v[90:91], v[96:97], -v[10:11]
	s_waitcnt vmcnt(2)
	v_mul_f64 v[24:25], v[122:123], v[126:127]
	v_mul_f64 v[26:27], v[120:121], v[126:127]
	s_waitcnt vmcnt(0)
	v_mul_f64 v[28:29], v[130:131], v[134:135]
	v_mul_f64 v[30:31], v[128:129], v[134:135]
	v_fma_f64 v[12:13], v[92:93], v[100:101], v[12:13]
	v_fma_f64 v[14:15], v[94:95], v[100:101], -v[14:15]
	v_fma_f64 v[16:17], v[104:105], v[112:113], v[16:17]
	v_fma_f64 v[18:19], v[106:107], v[112:113], -v[18:19]
	;; [unrolled: 2-line block ×5, first 2 shown]
	ds_write_b128 v136, v[0:3] offset:10080
	ds_write_b128 v136, v[4:7] offset:11200
	;; [unrolled: 1-line block ×8, first 2 shown]
.LBB0_3:
	s_or_b64 exec, exec, s[6:7]
	s_load_dwordx2 s[2:3], s[4:5], 0x20
	s_load_dwordx2 s[8:9], s[4:5], 0x8
	s_waitcnt vmcnt(0) lgkmcnt(0)
	s_barrier
	s_waitcnt lgkmcnt(0)
                                        ; implicit-def: $vgpr8_vgpr9
                                        ; implicit-def: $vgpr68_vgpr69
                                        ; implicit-def: $vgpr72_vgpr73
                                        ; implicit-def: $vgpr64_vgpr65
                                        ; implicit-def: $vgpr60_vgpr61
                                        ; implicit-def: $vgpr56_vgpr57
                                        ; implicit-def: $vgpr52_vgpr53
                                        ; implicit-def: $vgpr12_vgpr13
                                        ; implicit-def: $vgpr16_vgpr17
                                        ; implicit-def: $vgpr20_vgpr21
                                        ; implicit-def: $vgpr24_vgpr25
                                        ; implicit-def: $vgpr28_vgpr29
                                        ; implicit-def: $vgpr32_vgpr33
                                        ; implicit-def: $vgpr36_vgpr37
                                        ; implicit-def: $vgpr40_vgpr41
                                        ; implicit-def: $vgpr44_vgpr45
                                        ; implicit-def: $vgpr48_vgpr49
	s_and_saveexec_b64 s[4:5], s[0:1]
	s_cbranch_execz .LBB0_5
; %bb.4:
	buffer_load_dword v0, off, s[64:67], 0  ; 4-byte Folded Reload
	s_waitcnt vmcnt(0)
	v_lshlrev_b32_e32 v0, 4, v0
	v_lshl_add_u32 v0, v224, 4, v0
	ds_read_b128 v[8:11], v0
	ds_read_b128 v[68:71], v0 offset:1120
	ds_read_b128 v[72:75], v0 offset:2240
	ds_read_b128 v[64:67], v0 offset:3360
	ds_read_b128 v[60:63], v0 offset:4480
	ds_read_b128 v[56:59], v0 offset:5600
	ds_read_b128 v[52:55], v0 offset:6720
	ds_read_b128 v[12:15], v0 offset:7840
	ds_read_b128 v[16:19], v0 offset:8960
	ds_read_b128 v[20:23], v0 offset:10080
	ds_read_b128 v[24:27], v0 offset:11200
	ds_read_b128 v[28:31], v0 offset:12320
	ds_read_b128 v[32:35], v0 offset:13440
	ds_read_b128 v[36:39], v0 offset:14560
	ds_read_b128 v[40:43], v0 offset:15680
	ds_read_b128 v[44:47], v0 offset:16800
	ds_read_b128 v[48:51], v0 offset:17920
.LBB0_5:
	s_or_b64 exec, exec, s[4:5]
	s_waitcnt lgkmcnt(0)
	v_add_f64 v[120:121], v[70:71], -v[50:51]
	s_mov_b32 s18, 0x5d8e7cdc
	s_mov_b32 s19, 0xbfd71e95
	v_add_f64 v[102:103], v[68:69], v[48:49]
	v_add_f64 v[106:107], v[68:69], -v[48:49]
	v_add_f64 v[142:143], v[74:75], -v[46:47]
	s_mov_b32 s4, 0x370991
	s_mov_b32 s16, 0x2a9d6da3
	v_mul_f64 v[88:89], v[120:121], s[18:19]
	s_mov_b32 s5, 0x3fedd6d0
	s_mov_b32 s17, 0xbfe58eea
	v_add_f64 v[104:105], v[70:71], v[50:51]
	v_mul_f64 v[90:91], v[106:107], s[18:19]
	v_add_f64 v[116:117], v[72:73], v[44:45]
	v_add_f64 v[136:137], v[72:73], -v[44:45]
	v_mul_f64 v[98:99], v[142:143], s[16:17]
	v_fma_f64 v[0:1], v[102:103], s[4:5], v[88:89]
	s_mov_b32 s6, 0x75d4884
	s_mov_b32 s7, 0x3fe7a5f6
	v_mul_f64 v[92:93], v[120:121], s[16:17]
	v_fma_f64 v[2:3], v[104:105], s[4:5], -v[90:91]
	v_add_f64 v[118:119], v[74:75], v[46:47]
	v_mul_f64 v[100:101], v[136:137], s[16:17]
	v_fma_f64 v[80:81], v[116:117], s[6:7], v[98:99]
	v_add_f64 v[0:1], v[8:9], v[0:1]
	s_mov_b32 s28, 0xeb564b22
	s_mov_b32 s29, 0xbfefdd0d
	v_mul_f64 v[94:95], v[106:107], s[16:17]
	v_add_f64 v[2:3], v[10:11], v[2:3]
	v_fma_f64 v[4:5], v[102:103], s[6:7], v[92:93]
	v_mul_f64 v[110:111], v[142:143], s[28:29]
	s_mov_b32 s22, 0x7c9e640b
	v_add_f64 v[0:1], v[80:81], v[0:1]
	v_fma_f64 v[80:81], v[118:119], s[6:7], -v[100:101]
	s_mov_b32 s20, 0x3259b75e
	s_mov_b32 s23, 0xbfeca52d
	;; [unrolled: 1-line block ×3, first 2 shown]
	v_add_f64 v[4:5], v[8:9], v[4:5]
	v_fma_f64 v[6:7], v[104:105], s[6:7], -v[94:95]
	v_mul_f64 v[108:109], v[120:121], s[22:23]
	v_mul_f64 v[122:123], v[136:137], s[28:29]
	v_add_f64 v[2:3], v[80:81], v[2:3]
	v_fma_f64 v[80:81], v[116:117], s[20:21], v[110:111]
	s_mov_b32 s10, 0x2b2883cd
	s_mov_b32 s30, 0x6c9a05f6
	;; [unrolled: 1-line block ×4, first 2 shown]
	v_add_f64 v[6:7], v[10:11], v[6:7]
	v_mul_f64 v[112:113], v[106:107], s[22:23]
	v_fma_f64 v[76:77], v[102:103], s[10:11], v[108:109]
	v_add_f64 v[4:5], v[80:81], v[4:5]
	v_fma_f64 v[80:81], v[118:119], s[20:21], -v[122:123]
	v_mul_f64 v[126:127], v[142:143], s[30:31]
	s_mov_b32 s24, 0x6ed5f1bb
	s_mov_b32 s25, 0xbfe348c8
	v_mul_f64 v[144:145], v[136:137], s[30:31]
	v_fma_f64 v[78:79], v[104:105], s[10:11], -v[112:113]
	v_add_f64 v[76:77], v[8:9], v[76:77]
	v_add_f64 v[162:163], v[66:67], -v[42:43]
	v_add_f64 v[6:7], v[80:81], v[6:7]
	v_fma_f64 v[80:81], v[116:117], s[24:25], v[126:127]
	v_add_f64 v[134:135], v[64:65], v[40:41]
	v_add_f64 v[152:153], v[64:65], -v[40:41]
	v_add_f64 v[138:139], v[66:67], v[42:43]
	v_add_f64 v[78:79], v[10:11], v[78:79]
	s_mov_b32 s36, 0xacd6c6b4
	v_mul_f64 v[114:115], v[162:163], s[22:23]
	v_mul_f64 v[128:129], v[162:163], s[30:31]
	v_add_f64 v[76:77], v[80:81], v[76:77]
	v_fma_f64 v[80:81], v[118:119], s[24:25], -v[144:145]
	v_mul_f64 v[124:125], v[152:153], s[22:23]
	v_mul_f64 v[146:147], v[152:153], s[30:31]
	s_mov_b32 s37, 0x3fc7851a
	v_mul_f64 v[154:155], v[162:163], s[36:37]
	s_mov_b32 s26, 0x7faef3
	s_mov_b32 s27, 0xbfef7484
	v_mul_f64 v[164:165], v[152:153], s[36:37]
	v_add_f64 v[78:79], v[80:81], v[78:79]
	v_fma_f64 v[80:81], v[134:135], s[10:11], v[114:115]
	v_add_f64 v[182:183], v[62:63], -v[38:39]
	v_add_f64 v[156:157], v[60:61], v[36:37]
	v_add_f64 v[172:173], v[60:61], -v[36:37]
	v_add_f64 v[158:159], v[62:63], v[38:39]
	s_mov_b32 s41, 0xbfc7851a
	s_mov_b32 s40, s36
	;; [unrolled: 1-line block ×3, first 2 shown]
	v_add_f64 v[0:1], v[80:81], v[0:1]
	v_fma_f64 v[80:81], v[138:139], s[10:11], -v[124:125]
	v_mul_f64 v[148:149], v[182:183], s[28:29]
	v_mul_f64 v[150:151], v[172:173], s[28:29]
	;; [unrolled: 1-line block ×4, first 2 shown]
	s_mov_b32 s45, 0x3feec746
	v_mul_f64 v[180:181], v[182:183], s[44:45]
	s_mov_b32 s34, 0xc61f0d01
	v_add_f64 v[2:3], v[80:81], v[2:3]
	v_fma_f64 v[80:81], v[134:135], s[24:25], v[128:129]
	s_mov_b32 s35, 0xbfd183b1
	v_mul_f64 v[184:185], v[172:173], s[44:45]
	v_add_f64 v[202:203], v[58:59], -v[34:35]
	s_mov_b32 s49, 0xbfeec746
	s_mov_b32 s48, s44
	v_add_f64 v[176:177], v[56:57], v[32:33]
	v_add_f64 v[194:195], v[56:57], -v[32:33]
	v_add_f64 v[4:5], v[80:81], v[4:5]
	v_fma_f64 v[80:81], v[138:139], s[24:25], -v[146:147]
	v_add_f64 v[178:179], v[58:59], v[34:35]
	v_mul_f64 v[168:169], v[202:203], s[48:49]
	s_mov_b32 s50, 0x4363dd80
	s_mov_b32 s51, 0x3fe0d888
	v_mul_f64 v[174:175], v[202:203], s[50:51]
	v_mul_f64 v[170:171], v[194:195], s[48:49]
	s_mov_b32 s38, 0x910ea3b9
	v_add_f64 v[6:7], v[80:81], v[6:7]
	v_fma_f64 v[80:81], v[134:135], s[26:27], v[154:155]
	s_mov_b32 s39, 0xbfeb34fa
	v_mul_f64 v[186:187], v[194:195], s[50:51]
	s_mov_b32 s43, 0x3fe58eea
	s_mov_b32 s42, s16
	v_mul_f64 v[196:197], v[202:203], s[42:43]
	v_mul_f64 v[204:205], v[194:195], s[42:43]
	v_add_f64 v[233:234], v[54:55], -v[30:31]
	v_add_f64 v[76:77], v[80:81], v[76:77]
	v_fma_f64 v[80:81], v[138:139], s[26:27], -v[164:165]
	v_add_f64 v[198:199], v[52:53], v[28:29]
	v_add_f64 v[216:217], v[52:53], -v[28:29]
	v_add_f64 v[200:201], v[54:55], v[30:31]
	v_add_f64 v[249:250], v[14:15], -v[26:27]
	s_mov_b32 s53, 0xbfe0d888
	v_mul_f64 v[188:189], v[233:234], s[30:31]
	v_mul_f64 v[192:193], v[233:234], s[44:45]
	v_add_f64 v[78:79], v[80:81], v[78:79]
	v_fma_f64 v[80:81], v[156:157], s[20:21], v[148:149]
	v_mul_f64 v[190:191], v[216:217], s[30:31]
	v_mul_f64 v[208:209], v[216:217], s[44:45]
	;; [unrolled: 1-line block ×4, first 2 shown]
	s_mov_b32 s52, s50
	v_add_f64 v[218:219], v[12:13], v[24:25]
	v_add_f64 v[241:242], v[12:13], -v[24:25]
	v_add_f64 v[0:1], v[80:81], v[0:1]
	v_fma_f64 v[80:81], v[158:159], s[20:21], -v[150:151]
	v_mul_f64 v[206:207], v[249:250], s[52:53]
	v_add_f64 v[220:221], v[14:15], v[26:27]
	s_mov_b32 s55, 0x3feca52d
	s_mov_b32 s54, s22
	v_mul_f64 v[214:215], v[249:250], s[54:55]
	v_mul_f64 v[210:211], v[241:242], s[52:53]
	;; [unrolled: 1-line block ×3, first 2 shown]
	v_add_f64 v[2:3], v[80:81], v[2:3]
	v_fma_f64 v[80:81], v[156:157], s[26:27], v[160:161]
	v_mul_f64 v[227:228], v[249:250], s[28:29]
	v_mul_f64 v[245:246], v[241:242], s[28:29]
	v_add_f64 v[243:244], v[18:19], -v[22:23]
	v_add_f64 v[235:236], v[16:17], v[20:21]
	v_add_f64 v[96:97], v[16:17], -v[20:21]
	v_add_f64 v[239:240], v[18:19], v[22:23]
	s_mov_b32 s57, 0x3fd71e95
	v_add_f64 v[4:5], v[80:81], v[4:5]
	v_fma_f64 v[80:81], v[158:159], s[26:27], -v[166:167]
	s_mov_b32 s56, s18
	v_mul_f64 v[222:223], v[243:244], s[40:41]
	v_mul_f64 v[237:238], v[243:244], s[56:57]
	;; [unrolled: 1-line block ×6, first 2 shown]
	v_add_f64 v[6:7], v[80:81], v[6:7]
	v_fma_f64 v[80:81], v[156:157], s[34:35], v[180:181]
	v_add_f64 v[76:77], v[80:81], v[76:77]
	v_fma_f64 v[80:81], v[158:159], s[34:35], -v[184:185]
	v_add_f64 v[78:79], v[80:81], v[78:79]
	v_fma_f64 v[80:81], v[176:177], s[34:35], v[168:169]
	v_add_f64 v[0:1], v[80:81], v[0:1]
	v_fma_f64 v[80:81], v[178:179], s[34:35], -v[170:171]
	v_add_f64 v[2:3], v[80:81], v[2:3]
	v_fma_f64 v[80:81], v[176:177], s[38:39], v[174:175]
	v_add_f64 v[4:5], v[80:81], v[4:5]
	v_fma_f64 v[80:81], v[178:179], s[38:39], -v[186:187]
	v_add_f64 v[6:7], v[80:81], v[6:7]
	v_fma_f64 v[80:81], v[176:177], s[6:7], v[196:197]
	v_add_f64 v[76:77], v[80:81], v[76:77]
	v_fma_f64 v[80:81], v[178:179], s[6:7], -v[204:205]
	v_add_f64 v[78:79], v[80:81], v[78:79]
	v_fma_f64 v[80:81], v[198:199], s[24:25], v[188:189]
	v_add_f64 v[0:1], v[80:81], v[0:1]
	v_fma_f64 v[80:81], v[200:201], s[24:25], -v[190:191]
	v_add_f64 v[2:3], v[80:81], v[2:3]
	v_fma_f64 v[80:81], v[198:199], s[34:35], v[192:193]
	v_add_f64 v[4:5], v[80:81], v[4:5]
	v_fma_f64 v[80:81], v[200:201], s[34:35], -v[208:209]
	v_add_f64 v[6:7], v[80:81], v[6:7]
	v_fma_f64 v[80:81], v[198:199], s[4:5], v[212:213]
	v_add_f64 v[76:77], v[80:81], v[76:77]
	v_fma_f64 v[80:81], v[200:201], s[4:5], -v[231:232]
	v_add_f64 v[78:79], v[80:81], v[78:79]
	v_fma_f64 v[80:81], v[218:219], s[38:39], v[206:207]
	v_add_f64 v[0:1], v[80:81], v[0:1]
	v_fma_f64 v[80:81], v[220:221], s[38:39], -v[210:211]
	v_add_f64 v[2:3], v[80:81], v[2:3]
	v_fma_f64 v[80:81], v[218:219], s[10:11], v[214:215]
	v_add_f64 v[4:5], v[80:81], v[4:5]
	v_fma_f64 v[80:81], v[220:221], s[10:11], -v[225:226]
	v_add_f64 v[6:7], v[80:81], v[6:7]
	v_fma_f64 v[80:81], v[218:219], s[20:21], v[227:228]
	v_add_f64 v[76:77], v[80:81], v[76:77]
	v_fma_f64 v[80:81], v[220:221], s[20:21], -v[245:246]
	v_add_f64 v[78:79], v[80:81], v[78:79]
	v_fma_f64 v[80:81], v[235:236], s[26:27], v[222:223]
	v_add_f64 v[80:81], v[80:81], v[0:1]
	v_fma_f64 v[0:1], v[239:240], s[26:27], -v[229:230]
	v_add_f64 v[82:83], v[0:1], v[2:3]
	v_fma_f64 v[0:1], v[235:236], s[4:5], v[237:238]
	buffer_store_dword v80, off, s[64:67], 0 offset:4 ; 4-byte Folded Spill
	s_nop 0
	buffer_store_dword v81, off, s[64:67], 0 offset:8 ; 4-byte Folded Spill
	buffer_store_dword v82, off, s[64:67], 0 offset:12 ; 4-byte Folded Spill
	;; [unrolled: 1-line block ×3, first 2 shown]
	v_add_f64 v[2:3], v[0:1], v[4:5]
	v_fma_f64 v[0:1], v[239:240], s[4:5], -v[247:248]
	v_add_f64 v[4:5], v[0:1], v[6:7]
	v_fma_f64 v[0:1], v[235:236], s[38:39], v[251:252]
	buffer_store_dword v2, off, s[64:67], 0 offset:20 ; 4-byte Folded Spill
	s_nop 0
	buffer_store_dword v3, off, s[64:67], 0 offset:24 ; 4-byte Folded Spill
	buffer_store_dword v4, off, s[64:67], 0 offset:28 ; 4-byte Folded Spill
	;; [unrolled: 1-line block ×3, first 2 shown]
	v_add_f64 v[84:85], v[0:1], v[76:77]
	v_fma_f64 v[0:1], v[239:240], s[38:39], -v[253:254]
	s_waitcnt vmcnt(0)
	s_barrier
	v_add_f64 v[86:87], v[0:1], v[78:79]
	s_and_saveexec_b64 s[46:47], s[0:1]
	s_cbranch_execz .LBB0_7
; %bb.6:
	v_mul_f64 v[0:1], v[104:105], s[26:27]
	v_mul_f64 v[4:5], v[118:119], s[4:5]
	;; [unrolled: 1-line block ×4, first 2 shown]
	buffer_store_dword v88, off, s[64:67], 0 offset:48 ; 4-byte Folded Spill
	s_nop 0
	buffer_store_dword v89, off, s[64:67], 0 offset:52 ; 4-byte Folded Spill
	v_mul_f64 v[88:89], v[162:163], s[52:53]
	buffer_store_dword v90, off, s[64:67], 0 offset:80 ; 4-byte Folded Spill
	s_nop 0
	buffer_store_dword v91, off, s[64:67], 0 offset:84 ; 4-byte Folded Spill
	v_mul_f64 v[90:91], v[158:159], s[6:7]
	v_fma_f64 v[2:3], v[106:107], s[36:37], v[0:1]
	v_fma_f64 v[6:7], v[136:137], s[18:19], v[4:5]
	;; [unrolled: 1-line block ×5, first 2 shown]
	buffer_store_dword v92, off, s[64:67], 0 offset:64 ; 4-byte Folded Spill
	s_nop 0
	buffer_store_dword v93, off, s[64:67], 0 offset:68 ; 4-byte Folded Spill
	v_mul_f64 v[92:93], v[182:183], s[42:43]
	buffer_store_dword v94, off, s[64:67], 0 offset:160 ; 4-byte Folded Spill
	s_nop 0
	buffer_store_dword v95, off, s[64:67], 0 offset:164 ; 4-byte Folded Spill
	v_add_f64 v[2:3], v[10:11], v[2:3]
	v_mul_f64 v[94:95], v[178:179], s[24:25]
	v_add_f64 v[0:1], v[10:11], v[0:1]
	s_mov_b32 s59, 0x3fe9895b
	s_mov_b32 s58, s30
	buffer_store_dword v98, off, s[64:67], 0 offset:96 ; 4-byte Folded Spill
	s_nop 0
	buffer_store_dword v99, off, s[64:67], 0 offset:100 ; 4-byte Folded Spill
	buffer_store_dword v100, off, s[64:67], 0 offset:112 ; 4-byte Folded Spill
	s_nop 0
	buffer_store_dword v101, off, s[64:67], 0 offset:116 ; 4-byte Folded Spill
	v_mul_f64 v[98:99], v[202:203], s[30:31]
	v_add_f64 v[2:3], v[6:7], v[2:3]
	v_mul_f64 v[6:7], v[120:121], s[40:41]
	v_add_f64 v[0:1], v[4:5], v[0:1]
	v_mul_f64 v[100:101], v[200:201], s[10:11]
	buffer_store_dword v108, off, s[64:67], 0 offset:168 ; 4-byte Folded Spill
	s_nop 0
	buffer_store_dword v109, off, s[64:67], 0 offset:172 ; 4-byte Folded Spill
	buffer_store_dword v110, off, s[64:67], 0 offset:144 ; 4-byte Folded Spill
	s_nop 0
	buffer_store_dword v111, off, s[64:67], 0 offset:148 ; 4-byte Folded Spill
	v_mul_f64 v[110:111], v[220:221], s[34:35]
	v_mul_f64 v[108:109], v[233:234], s[54:55]
	buffer_store_dword v112, off, s[64:67], 0 offset:192 ; 4-byte Folded Spill
	s_nop 0
	buffer_store_dword v113, off, s[64:67], 0 offset:196 ; 4-byte Folded Spill
	v_fma_f64 v[76:77], v[102:103], s[26:27], v[6:7]
	v_fma_f64 v[4:5], v[102:103], s[26:27], -v[6:7]
	v_fma_f64 v[6:7], v[116:117], s[4:5], -v[80:81]
	v_mul_f64 v[112:113], v[249:250], s[48:49]
	buffer_store_dword v114, off, s[64:67], 0 offset:128 ; 4-byte Folded Spill
	s_nop 0
	buffer_store_dword v115, off, s[64:67], 0 offset:132 ; 4-byte Folded Spill
	v_mul_f64 v[114:115], v[239:240], s[20:21]
	s_mov_b32 s61, 0x3fefdd0d
	s_mov_b32 s60, s28
	v_add_f64 v[76:77], v[8:9], v[76:77]
	v_add_f64 v[4:5], v[8:9], v[4:5]
	buffer_store_dword v122, off, s[64:67], 0 offset:184 ; 4-byte Folded Spill
	s_nop 0
	buffer_store_dword v123, off, s[64:67], 0 offset:188 ; 4-byte Folded Spill
	buffer_store_dword v124, off, s[64:67], 0 offset:200 ; 4-byte Folded Spill
	s_nop 0
	buffer_store_dword v125, off, s[64:67], 0 offset:204 ; 4-byte Folded Spill
	v_mul_f64 v[124:125], v[233:234], s[40:41]
	buffer_store_dword v126, off, s[64:67], 0 offset:232 ; 4-byte Folded Spill
	s_nop 0
	buffer_store_dword v127, off, s[64:67], 0 offset:236 ; 4-byte Folded Spill
	v_mul_f64 v[126:127], v[249:250], s[42:43]
	buffer_store_dword v128, off, s[64:67], 0 offset:216 ; 4-byte Folded Spill
	s_nop 0
	buffer_store_dword v129, off, s[64:67], 0 offset:220 ; 4-byte Folded Spill
	v_add_f64 v[76:77], v[78:79], v[76:77]
	v_fma_f64 v[78:79], v[152:153], s[50:51], v[82:83]
	v_add_f64 v[4:5], v[6:7], v[4:5]
	v_fma_f64 v[6:7], v[152:153], s[52:53], v[82:83]
	v_mul_f64 v[128:129], v[239:240], s[34:35]
	v_mul_f64 v[132:133], v[239:240], s[10:11]
	v_add_f64 v[2:3], v[78:79], v[2:3]
	v_fma_f64 v[78:79], v[134:135], s[38:39], v[88:89]
	v_add_f64 v[0:1], v[6:7], v[0:1]
	v_fma_f64 v[6:7], v[134:135], s[38:39], -v[88:89]
	v_add_f64 v[76:77], v[78:79], v[76:77]
	v_fma_f64 v[78:79], v[172:173], s[16:17], v[90:91]
	v_add_f64 v[4:5], v[6:7], v[4:5]
	v_fma_f64 v[6:7], v[172:173], s[42:43], v[90:91]
	;; [unrolled: 2-line block ×6, first 2 shown]
	v_mul_f64 v[94:95], v[178:179], s[4:5]
	v_add_f64 v[2:3], v[78:79], v[2:3]
	v_fma_f64 v[78:79], v[176:177], s[24:25], v[98:99]
	v_add_f64 v[0:1], v[6:7], v[0:1]
	v_fma_f64 v[6:7], v[241:242], s[48:49], v[110:111]
	;; [unrolled: 2-line block ×3, first 2 shown]
	v_add_f64 v[0:1], v[6:7], v[0:1]
	v_fma_f64 v[6:7], v[156:157], s[6:7], -v[92:93]
	v_mul_f64 v[92:93], v[158:159], s[24:25]
	v_mul_f64 v[100:101], v[220:221], s[6:7]
	v_add_f64 v[2:3], v[78:79], v[2:3]
	v_fma_f64 v[78:79], v[198:199], s[10:11], v[108:109]
	v_add_f64 v[4:5], v[6:7], v[4:5]
	v_fma_f64 v[6:7], v[176:177], s[24:25], -v[98:99]
	v_mul_f64 v[98:99], v[200:201], s[26:27]
	v_add_f64 v[76:77], v[78:79], v[76:77]
	v_fma_f64 v[78:79], v[241:242], s[44:45], v[110:111]
	v_add_f64 v[4:5], v[6:7], v[4:5]
	v_fma_f64 v[6:7], v[198:199], s[10:11], -v[108:109]
	v_mul_f64 v[108:109], v[120:121], s[52:53]
	v_mul_f64 v[110:111], v[142:143], s[54:55]
	v_add_f64 v[2:3], v[78:79], v[2:3]
	v_fma_f64 v[78:79], v[218:219], s[34:35], v[112:113]
	v_add_f64 v[4:5], v[6:7], v[4:5]
	v_fma_f64 v[6:7], v[218:219], s[34:35], -v[112:113]
	v_fma_f64 v[90:91], v[116:117], s[10:11], v[110:111]
	v_mul_f64 v[112:113], v[162:163], s[28:29]
	v_add_f64 v[76:77], v[78:79], v[76:77]
	v_fma_f64 v[78:79], v[96:97], s[28:29], v[114:115]
	v_add_f64 v[4:5], v[6:7], v[4:5]
	v_fma_f64 v[6:7], v[96:97], s[60:61], v[114:115]
	v_mul_f64 v[114:115], v[182:183], s[58:59]
	v_add_f64 v[78:79], v[78:79], v[2:3]
	v_mul_f64 v[2:3], v[243:244], s[60:61]
	v_add_f64 v[82:83], v[6:7], v[0:1]
	v_mul_f64 v[0:1], v[104:105], s[38:39]
	v_fma_f64 v[122:123], v[235:236], s[20:21], v[2:3]
	v_fma_f64 v[2:3], v[235:236], s[20:21], -v[2:3]
	v_add_f64 v[76:77], v[122:123], v[76:77]
	v_add_f64 v[80:81], v[2:3], v[4:5]
	v_fma_f64 v[2:3], v[106:107], s[50:51], v[0:1]
	v_mul_f64 v[4:5], v[118:119], s[10:11]
	v_fma_f64 v[0:1], v[106:107], s[52:53], v[0:1]
	v_mul_f64 v[122:123], v[202:203], s[18:19]
	v_add_f64 v[2:3], v[10:11], v[2:3]
	v_fma_f64 v[6:7], v[136:137], s[22:23], v[4:5]
	v_fma_f64 v[4:5], v[136:137], s[54:55], v[4:5]
	v_add_f64 v[0:1], v[10:11], v[0:1]
	v_add_f64 v[2:3], v[6:7], v[2:3]
	v_mul_f64 v[6:7], v[138:139], s[20:21]
	v_add_f64 v[0:1], v[4:5], v[0:1]
	v_fma_f64 v[88:89], v[152:153], s[60:61], v[6:7]
	v_fma_f64 v[4:5], v[152:153], s[28:29], v[6:7]
	v_fma_f64 v[6:7], v[116:117], s[10:11], -v[110:111]
	v_mul_f64 v[110:111], v[220:221], s[26:27]
	v_add_f64 v[2:3], v[88:89], v[2:3]
	v_fma_f64 v[88:89], v[172:173], s[30:31], v[92:93]
	v_add_f64 v[0:1], v[4:5], v[0:1]
	v_fma_f64 v[4:5], v[172:173], s[58:59], v[92:93]
	;; [unrolled: 2-line block ×6, first 2 shown]
	v_mul_f64 v[98:99], v[158:159], s[38:39]
	v_add_f64 v[2:3], v[88:89], v[2:3]
	v_fma_f64 v[88:89], v[241:242], s[16:17], v[100:101]
	v_add_f64 v[0:1], v[4:5], v[0:1]
	v_fma_f64 v[4:5], v[241:242], s[42:43], v[100:101]
	v_mul_f64 v[100:101], v[178:179], s[20:21]
	v_add_f64 v[2:3], v[88:89], v[2:3]
	v_fma_f64 v[88:89], v[102:103], s[38:39], v[108:109]
	v_add_f64 v[0:1], v[4:5], v[0:1]
	v_fma_f64 v[4:5], v[102:103], s[38:39], -v[108:109]
	v_mul_f64 v[108:109], v[200:201], s[6:7]
	v_add_f64 v[88:89], v[8:9], v[88:89]
	v_add_f64 v[4:5], v[8:9], v[4:5]
	;; [unrolled: 1-line block ×3, first 2 shown]
	v_fma_f64 v[90:91], v[134:135], s[20:21], v[112:113]
	v_add_f64 v[4:5], v[6:7], v[4:5]
	v_fma_f64 v[6:7], v[134:135], s[20:21], -v[112:113]
	v_mul_f64 v[112:113], v[120:121], s[30:31]
	v_add_f64 v[88:89], v[90:91], v[88:89]
	v_fma_f64 v[90:91], v[156:157], s[24:25], v[114:115]
	v_add_f64 v[4:5], v[6:7], v[4:5]
	v_fma_f64 v[6:7], v[156:157], s[24:25], -v[114:115]
	v_mul_f64 v[114:115], v[142:143], s[44:45]
	v_add_f64 v[88:89], v[90:91], v[88:89]
	;; [unrolled: 5-line block ×5, first 2 shown]
	v_fma_f64 v[90:91], v[96:97], s[44:45], v[128:129]
	v_add_f64 v[4:5], v[6:7], v[4:5]
	v_fma_f64 v[6:7], v[96:97], s[48:49], v[128:129]
	v_mul_f64 v[128:129], v[233:234], s[16:17]
	v_add_f64 v[90:91], v[90:91], v[2:3]
	v_mul_f64 v[2:3], v[243:244], s[48:49]
	v_add_f64 v[94:95], v[6:7], v[0:1]
	v_add_f64 v[0:1], v[10:11], v[70:71]
	v_fma_f64 v[70:71], v[116:117], s[34:35], v[114:115]
	v_fma_f64 v[130:131], v[235:236], s[34:35], v[2:3]
	v_fma_f64 v[2:3], v[235:236], s[34:35], -v[2:3]
	v_add_f64 v[0:1], v[0:1], v[74:75]
	v_mul_f64 v[74:75], v[138:139], s[4:5]
	v_add_f64 v[88:89], v[130:131], v[88:89]
	v_add_f64 v[92:93], v[2:3], v[4:5]
	;; [unrolled: 1-line block ×3, first 2 shown]
	v_mul_f64 v[4:5], v[104:105], s[24:25]
	v_add_f64 v[0:1], v[0:1], v[66:67]
	v_fma_f64 v[66:67], v[116:117], s[34:35], -v[114:115]
	v_mul_f64 v[130:131], v[249:250], s[40:41]
	v_mul_f64 v[114:115], v[142:143], s[50:51]
	v_add_f64 v[2:3], v[2:3], v[72:73]
	v_fma_f64 v[6:7], v[106:107], s[58:59], v[4:5]
	v_mul_f64 v[72:73], v[118:119], s[34:35]
	v_fma_f64 v[4:5], v[106:107], s[30:31], v[4:5]
	v_add_f64 v[0:1], v[0:1], v[62:63]
	v_fma_f64 v[62:63], v[116:117], s[38:39], v[114:115]
	v_add_f64 v[2:3], v[2:3], v[64:65]
	v_add_f64 v[6:7], v[10:11], v[6:7]
	v_fma_f64 v[68:69], v[136:137], s[48:49], v[72:73]
	v_fma_f64 v[64:65], v[136:137], s[44:45], v[72:73]
	v_add_f64 v[4:5], v[10:11], v[4:5]
	v_mul_f64 v[72:73], v[118:119], s[38:39]
	v_add_f64 v[0:1], v[0:1], v[58:59]
	v_fma_f64 v[58:59], v[116:117], s[38:39], -v[114:115]
	v_add_f64 v[2:3], v[2:3], v[60:61]
	v_add_f64 v[6:7], v[68:69], v[6:7]
	v_fma_f64 v[68:69], v[152:153], s[56:57], v[74:75]
	v_add_f64 v[4:5], v[64:65], v[4:5]
	v_fma_f64 v[64:65], v[152:153], s[18:19], v[74:75]
	v_fma_f64 v[60:61], v[136:137], s[52:53], v[72:73]
	v_mul_f64 v[74:75], v[138:139], s[6:7]
	v_add_f64 v[2:3], v[2:3], v[56:57]
	v_fma_f64 v[56:57], v[136:137], s[50:51], v[72:73]
	v_add_f64 v[0:1], v[0:1], v[54:55]
	v_add_f64 v[6:7], v[68:69], v[6:7]
	v_fma_f64 v[68:69], v[172:173], s[50:51], v[98:99]
	v_add_f64 v[4:5], v[64:65], v[4:5]
	v_fma_f64 v[64:65], v[172:173], s[52:53], v[98:99]
	v_mul_f64 v[98:99], v[158:159], s[10:11]
	v_add_f64 v[2:3], v[2:3], v[52:53]
	v_mul_f64 v[52:53], v[118:119], s[26:27]
	v_add_f64 v[0:1], v[0:1], v[14:15]
	v_add_f64 v[6:7], v[68:69], v[6:7]
	v_fma_f64 v[68:69], v[194:195], s[28:29], v[100:101]
	v_add_f64 v[4:5], v[64:65], v[4:5]
	v_fma_f64 v[64:65], v[194:195], s[60:61], v[100:101]
	v_mul_f64 v[100:101], v[178:179], s[26:27]
	v_fma_f64 v[54:55], v[136:137], s[36:37], v[52:53]
	v_fma_f64 v[52:53], v[136:137], s[40:41], v[52:53]
	v_add_f64 v[2:3], v[2:3], v[12:13]
	v_add_f64 v[0:1], v[0:1], v[18:19]
	;; [unrolled: 1-line block ×3, first 2 shown]
	v_fma_f64 v[68:69], v[216:217], s[42:43], v[108:109]
	v_add_f64 v[4:5], v[64:65], v[4:5]
	v_fma_f64 v[64:65], v[216:217], s[16:17], v[108:109]
	v_mul_f64 v[108:109], v[200:201], s[20:21]
	v_add_f64 v[2:3], v[2:3], v[16:17]
	v_add_f64 v[0:1], v[0:1], v[22:23]
	;; [unrolled: 1-line block ×3, first 2 shown]
	v_fma_f64 v[68:69], v[241:242], s[36:37], v[110:111]
	v_add_f64 v[4:5], v[64:65], v[4:5]
	v_fma_f64 v[64:65], v[241:242], s[40:41], v[110:111]
	v_mul_f64 v[110:111], v[220:221], s[4:5]
	v_add_f64 v[2:3], v[2:3], v[20:21]
	v_add_f64 v[0:1], v[0:1], v[26:27]
	;; [unrolled: 1-line block ×3, first 2 shown]
	v_fma_f64 v[68:69], v[102:103], s[24:25], v[112:113]
	v_add_f64 v[4:5], v[64:65], v[4:5]
	v_fma_f64 v[64:65], v[102:103], s[24:25], -v[112:113]
	v_mul_f64 v[112:113], v[120:121], s[48:49]
	v_add_f64 v[0:1], v[0:1], v[30:31]
	v_add_f64 v[2:3], v[2:3], v[24:25]
	;; [unrolled: 1-line block ×7, first 2 shown]
	v_fma_f64 v[70:71], v[134:135], s[4:5], v[122:123]
	v_add_f64 v[64:65], v[66:67], v[64:65]
	v_fma_f64 v[66:67], v[134:135], s[4:5], -v[122:123]
	v_mul_f64 v[122:123], v[162:163], s[42:43]
	v_add_f64 v[0:1], v[0:1], v[38:39]
	v_add_f64 v[2:3], v[2:3], v[32:33]
	v_add_f64 v[68:69], v[70:71], v[68:69]
	v_fma_f64 v[70:71], v[156:157], s[38:39], v[124:125]
	v_add_f64 v[64:65], v[66:67], v[64:65]
	v_fma_f64 v[66:67], v[156:157], s[38:39], -v[124:125]
	v_mul_f64 v[124:125], v[182:183], s[22:23]
	v_add_f64 v[0:1], v[0:1], v[42:43]
	v_add_f64 v[2:3], v[2:3], v[36:37]
	v_add_f64 v[68:69], v[70:71], v[68:69]
	;; [unrolled: 7-line block ×3, first 2 shown]
	v_fma_f64 v[70:71], v[198:199], s[6:7], v[128:129]
	v_add_f64 v[64:65], v[66:67], v[64:65]
	v_fma_f64 v[66:67], v[198:199], s[6:7], -v[128:129]
	v_mul_f64 v[128:129], v[233:234], s[60:61]
	v_add_f64 v[2:3], v[2:3], v[44:45]
	v_add_f64 v[68:69], v[70:71], v[68:69]
	v_fma_f64 v[70:71], v[218:219], s[26:27], v[130:131]
	v_add_f64 v[64:65], v[66:67], v[64:65]
	v_fma_f64 v[66:67], v[218:219], s[26:27], -v[130:131]
	v_mul_f64 v[130:131], v[249:250], s[18:19]
	v_add_f64 v[68:69], v[70:71], v[68:69]
	v_fma_f64 v[70:71], v[96:97], s[22:23], v[132:133]
	v_add_f64 v[64:65], v[66:67], v[64:65]
	v_fma_f64 v[66:67], v[96:97], s[54:55], v[132:133]
	v_mul_f64 v[132:133], v[239:240], s[24:25]
	v_add_f64 v[70:71], v[70:71], v[6:7]
	v_mul_f64 v[6:7], v[243:244], s[54:55]
	v_add_f64 v[66:67], v[66:67], v[4:5]
	v_mul_f64 v[4:5], v[104:105], s[34:35]
	v_fma_f64 v[140:141], v[235:236], s[10:11], v[6:7]
	v_fma_f64 v[6:7], v[235:236], s[10:11], -v[6:7]
	v_add_f64 v[68:69], v[140:141], v[68:69]
	v_add_f64 v[64:65], v[6:7], v[64:65]
	v_fma_f64 v[6:7], v[106:107], s[44:45], v[4:5]
	v_fma_f64 v[4:5], v[106:107], s[48:49], v[4:5]
	v_add_f64 v[6:7], v[10:11], v[6:7]
	v_add_f64 v[4:5], v[10:11], v[4:5]
	;; [unrolled: 1-line block ×3, first 2 shown]
	v_fma_f64 v[60:61], v[152:153], s[16:17], v[74:75]
	v_add_f64 v[4:5], v[56:57], v[4:5]
	v_fma_f64 v[56:57], v[152:153], s[42:43], v[74:75]
	v_add_f64 v[6:7], v[60:61], v[6:7]
	;; [unrolled: 2-line block ×9, first 2 shown]
	v_fma_f64 v[56:57], v[241:242], s[18:19], v[110:111]
	v_mul_f64 v[110:111], v[142:143], s[40:41]
	v_mul_f64 v[142:143], v[176:177], s[34:35]
	v_add_f64 v[6:7], v[60:61], v[6:7]
	v_fma_f64 v[60:61], v[102:103], s[34:35], v[112:113]
	v_add_f64 v[4:5], v[56:57], v[4:5]
	v_fma_f64 v[56:57], v[102:103], s[34:35], -v[112:113]
	v_fma_f64 v[114:115], v[116:117], s[26:27], v[110:111]
	v_add_f64 v[60:61], v[8:9], v[60:61]
	v_add_f64 v[56:57], v[8:9], v[56:57]
	;; [unrolled: 1-line block ×3, first 2 shown]
	v_fma_f64 v[62:63], v[134:135], s[6:7], v[122:123]
	v_add_f64 v[56:57], v[58:59], v[56:57]
	v_fma_f64 v[58:59], v[134:135], s[6:7], -v[122:123]
	v_add_f64 v[60:61], v[62:63], v[60:61]
	v_fma_f64 v[62:63], v[156:157], s[10:11], v[124:125]
	v_add_f64 v[56:57], v[58:59], v[56:57]
	v_fma_f64 v[58:59], v[156:157], s[10:11], -v[124:125]
	v_mul_f64 v[124:125], v[116:117], s[20:21]
	v_add_f64 v[60:61], v[62:63], v[60:61]
	v_fma_f64 v[62:63], v[176:177], s[26:27], v[126:127]
	v_add_f64 v[56:57], v[58:59], v[56:57]
	v_fma_f64 v[58:59], v[176:177], s[26:27], -v[126:127]
	v_mul_f64 v[126:127], v[138:139], s[10:11]
	v_add_f64 v[60:61], v[62:63], v[60:61]
	v_fma_f64 v[62:63], v[198:199], s[20:21], v[128:129]
	v_add_f64 v[56:57], v[58:59], v[56:57]
	v_fma_f64 v[58:59], v[198:199], s[20:21], -v[128:129]
	v_add_f64 v[60:61], v[62:63], v[60:61]
	v_fma_f64 v[62:63], v[218:219], s[4:5], v[130:131]
	v_add_f64 v[56:57], v[58:59], v[56:57]
	v_fma_f64 v[58:59], v[218:219], s[4:5], -v[130:131]
	v_mul_f64 v[130:131], v[138:139], s[24:25]
	v_add_f64 v[60:61], v[62:63], v[60:61]
	v_fma_f64 v[62:63], v[96:97], s[58:59], v[132:133]
	v_add_f64 v[56:57], v[58:59], v[56:57]
	v_fma_f64 v[58:59], v[96:97], s[30:31], v[132:133]
	v_mul_f64 v[132:133], v[134:135], s[26:27]
	v_add_f64 v[130:131], v[146:147], v[130:131]
	v_mul_f64 v[146:147], v[198:199], s[24:25]
	v_add_f64 v[62:63], v[62:63], v[6:7]
	v_mul_f64 v[6:7], v[243:244], s[30:31]
	v_add_f64 v[58:59], v[58:59], v[4:5]
	v_mul_f64 v[4:5], v[104:105], s[20:21]
	v_add_f64 v[132:133], v[132:133], -v[154:155]
	v_mul_f64 v[154:155], v[176:177], s[6:7]
	v_fma_f64 v[140:141], v[235:236], s[24:25], v[6:7]
	v_fma_f64 v[6:7], v[235:236], s[24:25], -v[6:7]
	v_add_f64 v[154:155], v[154:155], -v[196:197]
	v_add_f64 v[60:61], v[140:141], v[60:61]
	v_add_f64 v[56:57], v[6:7], v[56:57]
	v_fma_f64 v[6:7], v[106:107], s[60:61], v[4:5]
	v_fma_f64 v[4:5], v[106:107], s[28:29], v[4:5]
	v_mul_f64 v[106:107], v[202:203], s[22:23]
	v_mul_f64 v[140:141], v[158:159], s[26:27]
	v_add_f64 v[6:7], v[10:11], v[6:7]
	v_add_f64 v[4:5], v[10:11], v[4:5]
	;; [unrolled: 1-line block ×3, first 2 shown]
	v_mul_f64 v[166:167], v[220:221], s[10:11]
	v_add_f64 v[6:7], v[54:55], v[6:7]
	v_mul_f64 v[54:55], v[138:139], s[34:35]
	v_add_f64 v[4:5], v[52:53], v[4:5]
	v_mul_f64 v[52:53], v[233:234], s[52:53]
	v_fma_f64 v[72:73], v[152:153], s[48:49], v[54:55]
	v_fma_f64 v[54:55], v[152:153], s[44:45], v[54:55]
	v_mul_f64 v[152:153], v[178:179], s[38:39]
	v_add_f64 v[6:7], v[72:73], v[6:7]
	v_mul_f64 v[72:73], v[158:159], s[4:5]
	v_add_f64 v[4:5], v[54:55], v[4:5]
	;; [unrolled: 2-line block ×3, first 2 shown]
	v_mul_f64 v[186:187], v[235:236], s[38:39]
	v_fma_f64 v[74:75], v[172:173], s[18:19], v[72:73]
	v_fma_f64 v[72:73], v[172:173], s[56:57], v[72:73]
	v_mul_f64 v[172:173], v[218:219], s[20:21]
	v_add_f64 v[6:7], v[74:75], v[6:7]
	v_mul_f64 v[74:75], v[178:179], s[10:11]
	v_add_f64 v[4:5], v[72:73], v[4:5]
	v_mul_f64 v[72:73], v[239:240], s[6:7]
	v_add_f64 v[12:13], v[172:173], -v[227:228]
	v_fma_f64 v[98:99], v[194:195], s[54:55], v[74:75]
	v_fma_f64 v[74:75], v[194:195], s[22:23], v[74:75]
	v_add_f64 v[6:7], v[98:99], v[6:7]
	v_mul_f64 v[98:99], v[200:201], s[38:39]
	v_add_f64 v[4:5], v[74:75], v[4:5]
	v_fma_f64 v[100:101], v[216:217], s[50:51], v[98:99]
	v_fma_f64 v[98:99], v[216:217], s[52:53], v[98:99]
	v_add_f64 v[6:7], v[100:101], v[6:7]
	v_mul_f64 v[100:101], v[220:221], s[24:25]
	v_add_f64 v[4:5], v[98:99], v[4:5]
	v_mul_f64 v[98:99], v[102:103], s[4:5]
	v_fma_f64 v[108:109], v[241:242], s[30:31], v[100:101]
	v_add_f64 v[6:7], v[108:109], v[6:7]
	v_mul_f64 v[108:109], v[120:121], s[28:29]
	v_fma_f64 v[112:113], v[102:103], s[20:21], v[108:109]
	v_fma_f64 v[74:75], v[102:103], s[20:21], -v[108:109]
	buffer_load_dword v108, off, s[64:67], 0 offset:192 ; 4-byte Folded Reload
	buffer_load_dword v109, off, s[64:67], 0 offset:196 ; 4-byte Folded Reload
	;; [unrolled: 1-line block ×4, first 2 shown]
	v_add_f64 v[112:113], v[8:9], v[112:113]
	v_add_f64 v[74:75], v[8:9], v[74:75]
	;; [unrolled: 1-line block ×3, first 2 shown]
	v_mul_f64 v[114:115], v[162:163], s[44:45]
	v_mul_f64 v[162:163], v[218:219], s[38:39]
	v_fma_f64 v[120:121], v[134:135], s[34:35], v[114:115]
	v_add_f64 v[112:113], v[120:121], v[112:113]
	v_mul_f64 v[120:121], v[182:183], s[56:57]
	v_fma_f64 v[122:123], v[156:157], s[4:5], v[120:121]
	v_add_f64 v[112:113], v[122:123], v[112:113]
	v_fma_f64 v[122:123], v[176:177], s[10:11], v[106:107]
	v_fma_f64 v[106:107], v[176:177], s[10:11], -v[106:107]
	v_add_f64 v[112:113], v[122:123], v[112:113]
	v_fma_f64 v[122:123], v[198:199], s[38:39], v[52:53]
	v_fma_f64 v[52:53], v[198:199], s[38:39], -v[52:53]
	;; [unrolled: 3-line block ×3, first 2 shown]
	v_add_f64 v[112:113], v[122:123], v[112:113]
	v_fma_f64 v[122:123], v[96:97], s[16:17], v[72:73]
	v_fma_f64 v[72:73], v[96:97], s[42:43], v[72:73]
	;; [unrolled: 1-line block ×3, first 2 shown]
	v_fma_f64 v[100:101], v[116:117], s[26:27], -v[110:111]
	v_mul_f64 v[110:111], v[138:139], s[26:27]
	v_mul_f64 v[138:139], v[156:157], s[26:27]
	v_add_f64 v[4:5], v[96:97], v[4:5]
	v_add_f64 v[74:75], v[100:101], v[74:75]
	v_fma_f64 v[100:101], v[134:135], s[34:35], -v[114:115]
	v_add_f64 v[110:111], v[164:165], v[110:111]
	v_mul_f64 v[114:115], v[102:103], s[6:7]
	v_mul_f64 v[102:103], v[102:103], s[10:11]
	;; [unrolled: 1-line block ×3, first 2 shown]
	v_add_f64 v[24:25], v[138:139], -v[160:161]
	v_mul_f64 v[164:165], v[218:219], s[10:11]
	v_add_f64 v[74:75], v[100:101], v[74:75]
	v_fma_f64 v[100:101], v[156:157], s[4:5], -v[120:121]
	v_mul_f64 v[120:121], v[118:119], s[6:7]
	s_waitcnt vmcnt(0)
	v_add_f64 v[102:103], v[102:103], -v[128:129]
	v_mul_f64 v[128:129], v[134:135], s[24:25]
	v_add_f64 v[96:97], v[245:246], v[96:97]
	v_add_f64 v[74:75], v[100:101], v[74:75]
	v_mul_f64 v[100:101], v[104:105], s[10:11]
	v_add_f64 v[102:103], v[8:9], v[102:103]
	v_add_f64 v[74:75], v[106:107], v[74:75]
	;; [unrolled: 1-line block ×3, first 2 shown]
	v_mul_f64 v[108:109], v[118:119], s[24:25]
	v_mul_f64 v[106:107], v[158:159], s[34:35]
	;; [unrolled: 1-line block ×3, first 2 shown]
	v_add_f64 v[52:53], v[52:53], v[74:75]
	v_add_f64 v[100:101], v[10:11], v[100:101]
	;; [unrolled: 1-line block ×4, first 2 shown]
	v_mul_f64 v[74:75], v[104:105], s[6:7]
	v_add_f64 v[54:55], v[54:55], v[52:53]
	v_mul_f64 v[52:53], v[156:157], s[34:35]
	v_add_f64 v[100:101], v[108:109], v[100:101]
	v_mul_f64 v[108:109], v[178:179], s[6:7]
	v_add_f64 v[52:53], v[52:53], -v[180:181]
	v_add_f64 v[100:101], v[110:111], v[100:101]
	v_mul_f64 v[110:111], v[104:105], s[4:5]
	v_add_f64 v[104:105], v[204:205], v[108:109]
	v_mul_f64 v[108:109], v[200:201], s[4:5]
	v_mul_f64 v[180:181], v[239:240], s[38:39]
	v_add_f64 v[100:101], v[106:107], v[100:101]
	v_mul_f64 v[106:107], v[116:117], s[6:7]
	v_mul_f64 v[116:117], v[116:117], s[24:25]
	v_add_f64 v[108:109], v[231:232], v[108:109]
	v_add_f64 v[100:101], v[104:105], v[100:101]
	v_mul_f64 v[104:105], v[134:135], s[10:11]
	buffer_load_dword v134, off, s[64:67], 0 offset:232 ; 4-byte Folded Reload
	buffer_load_dword v135, off, s[64:67], 0 offset:236 ; 4-byte Folded Reload
	;; [unrolled: 1-line block ×6, first 2 shown]
	v_add_f64 v[100:101], v[108:109], v[100:101]
	v_mul_f64 v[108:109], v[239:240], s[4:5]
	v_add_f64 v[96:97], v[96:97], v[100:101]
	v_add_f64 v[100:101], v[225:226], v[166:167]
	;; [unrolled: 1-line block ×3, first 2 shown]
	s_waitcnt vmcnt(4)
	v_add_f64 v[116:117], v[116:117], -v[134:135]
	s_waitcnt vmcnt(2)
	v_add_f64 v[74:75], v[136:137], v[74:75]
	s_waitcnt vmcnt(0)
	v_add_f64 v[118:119], v[144:145], v[118:119]
	v_mul_f64 v[136:137], v[158:159], s[20:21]
	v_mul_f64 v[158:159], v[198:199], s[4:5]
	;; [unrolled: 1-line block ×5, first 2 shown]
	v_add_f64 v[102:103], v[116:117], v[102:103]
	v_add_f64 v[74:75], v[10:11], v[74:75]
	v_mul_f64 v[116:117], v[176:177], s[38:39]
	v_add_f64 v[26:27], v[150:151], v[136:137]
	v_mul_f64 v[178:179], v[239:240], s[26:27]
	v_mul_f64 v[176:177], v[235:236], s[26:27]
	v_add_f64 v[156:157], v[208:209], v[156:157]
	v_add_f64 v[102:103], v[132:133], v[102:103]
	;; [unrolled: 1-line block ×3, first 2 shown]
	v_mul_f64 v[118:119], v[200:201], s[24:25]
	v_mul_f64 v[132:133], v[198:199], s[34:35]
	v_add_f64 v[102:103], v[52:53], v[102:103]
	v_add_f64 v[74:75], v[130:131], v[74:75]
	v_mul_f64 v[52:53], v[243:244], s[42:43]
	v_mul_f64 v[130:131], v[220:221], s[38:39]
	v_add_f64 v[74:75], v[140:141], v[74:75]
	v_fma_f64 v[182:183], v[235:236], s[6:7], v[52:53]
	v_fma_f64 v[184:185], v[235:236], s[6:7], -v[52:53]
	v_add_f64 v[52:53], v[122:123], v[6:7]
	v_add_f64 v[6:7], v[158:159], -v[212:213]
	v_mul_f64 v[140:141], v[235:236], s[4:5]
	v_add_f64 v[122:123], v[186:187], -v[251:252]
	v_add_f64 v[152:153], v[152:153], v[74:75]
	v_add_f64 v[74:75], v[72:73], v[4:5]
	;; [unrolled: 1-line block ×4, first 2 shown]
	v_add_f64 v[28:29], v[140:141], -v[237:238]
	v_add_f64 v[102:103], v[156:157], v[152:153]
	v_add_f64 v[6:7], v[6:7], v[72:73]
	buffer_load_dword v72, off, s[64:67], 0 offset:80 ; 4-byte Folded Reload
	buffer_load_dword v73, off, s[64:67], 0 offset:84 ; 4-byte Folded Reload
	;; [unrolled: 1-line block ×6, first 2 shown]
	v_add_f64 v[100:101], v[100:101], v[102:103]
	v_add_f64 v[6:7], v[12:13], v[6:7]
	;; [unrolled: 1-line block ×3, first 2 shown]
	s_waitcnt vmcnt(4)
	v_add_f64 v[72:73], v[72:73], v[110:111]
	s_waitcnt vmcnt(2)
	v_add_f64 v[16:17], v[98:99], -v[16:17]
	s_waitcnt vmcnt(0)
	v_add_f64 v[18:19], v[114:115], -v[18:19]
	buffer_load_dword v98, off, s[64:67], 0 offset:144 ; 4-byte Folded Reload
	buffer_load_dword v99, off, s[64:67], 0 offset:148 ; 4-byte Folded Reload
	;; [unrolled: 1-line block ×4, first 2 shown]
	v_add_f64 v[10:11], v[10:11], v[72:73]
	buffer_load_dword v72, off, s[64:67], 0 offset:96 ; 4-byte Folded Reload
	buffer_load_dword v73, off, s[64:67], 0 offset:100 ; 4-byte Folded Reload
	v_add_f64 v[16:17], v[8:9], v[16:17]
	v_add_f64 v[8:9], v[8:9], v[18:19]
	buffer_load_dword v18, off, s[64:67], 0 offset:216 ; 4-byte Folded Reload
	buffer_load_dword v19, off, s[64:67], 0 offset:220 ; 4-byte Folded Reload
	;; [unrolled: 1-line block ×6, first 2 shown]
	s_waitcnt vmcnt(10)
	v_add_f64 v[98:99], v[124:125], -v[98:99]
	s_waitcnt vmcnt(8)
	v_add_f64 v[102:103], v[102:103], v[120:121]
	s_waitcnt vmcnt(6)
	v_add_f64 v[72:73], v[106:107], -v[72:73]
	v_add_f64 v[8:9], v[98:99], v[8:9]
	v_add_f64 v[10:11], v[102:103], v[10:11]
	s_waitcnt vmcnt(2)
	v_add_f64 v[20:21], v[20:21], v[126:127]
	v_add_f64 v[18:19], v[128:129], -v[18:19]
	s_waitcnt vmcnt(0)
	v_add_f64 v[22:23], v[104:105], -v[22:23]
	v_add_f64 v[16:17], v[72:73], v[16:17]
	v_add_f64 v[72:73], v[184:185], v[54:55]
	;; [unrolled: 1-line block ×3, first 2 shown]
	v_add_f64 v[20:21], v[134:135], -v[148:149]
	v_add_f64 v[8:9], v[18:19], v[8:9]
	v_add_f64 v[18:19], v[116:117], -v[174:175]
	v_add_f64 v[16:17], v[22:23], v[16:17]
	v_add_f64 v[22:23], v[170:171], v[144:145]
	;; [unrolled: 1-line block ×3, first 2 shown]
	v_add_f64 v[26:27], v[142:143], -v[168:169]
	v_add_f64 v[8:9], v[24:25], v[8:9]
	v_add_f64 v[24:25], v[190:191], v[118:119]
	v_add_f64 v[16:17], v[20:21], v[16:17]
	v_add_f64 v[20:21], v[132:133], -v[192:193]
	v_add_f64 v[10:11], v[22:23], v[10:11]
	v_add_f64 v[22:23], v[146:147], -v[188:189]
	v_add_f64 v[8:9], v[18:19], v[8:9]
	v_add_f64 v[18:19], v[164:165], -v[214:215]
	v_add_f64 v[16:17], v[26:27], v[16:17]
	v_add_f64 v[26:27], v[210:211], v[130:131]
	v_add_f64 v[10:11], v[24:25], v[10:11]
	v_add_f64 v[24:25], v[162:163], -v[206:207]
	v_add_f64 v[8:9], v[20:21], v[8:9]
	v_add_f64 v[20:21], v[229:230], v[178:179]
	;; [unrolled: 1-line block ×4, first 2 shown]
	v_add_f64 v[26:27], v[176:177], -v[222:223]
	v_add_f64 v[8:9], v[18:19], v[8:9]
	v_add_f64 v[10:11], v[4:5], v[96:97]
	;; [unrolled: 1-line block ×5, first 2 shown]
	buffer_load_dword v0, off, s[64:67], 0  ; 4-byte Folded Reload
	v_add_f64 v[20:21], v[2:3], v[48:49]
	v_add_f64 v[16:17], v[26:27], v[16:17]
	;; [unrolled: 1-line block ×5, first 2 shown]
	s_waitcnt vmcnt(0)
	v_mul_lo_u16_e32 v0, 17, v0
	v_add_lshl_u32 v0, v224, v0, 4
	ds_write_b128 v0, v[20:23]
	ds_write_b128 v0, v[16:19] offset:16
	ds_write_b128 v0, v[12:15] offset:32
	;; [unrolled: 1-line block ×14, first 2 shown]
	buffer_load_dword v1, off, s[64:67], 0 offset:20 ; 4-byte Folded Reload
	buffer_load_dword v2, off, s[64:67], 0 offset:24 ; 4-byte Folded Reload
	;; [unrolled: 1-line block ×4, first 2 shown]
	s_waitcnt vmcnt(0)
	ds_write_b128 v0, v[1:4] offset:240
	buffer_load_dword v1, off, s[64:67], 0 offset:4 ; 4-byte Folded Reload
	buffer_load_dword v2, off, s[64:67], 0 offset:8 ; 4-byte Folded Reload
	;; [unrolled: 1-line block ×4, first 2 shown]
	s_waitcnt vmcnt(0)
	ds_write_b128 v0, v[1:4] offset:256
.LBB0_7:
	s_or_b64 exec, exec, s[46:47]
	s_load_dwordx4 s[4:7], s[2:3], 0x0
	s_waitcnt lgkmcnt(0)
	s_barrier
	buffer_load_dword v42, off, s[64:67], 0 ; 4-byte Folded Reload
	s_movk_i32 s2, 0xff
	s_movk_i32 s3, 0x1fe
	s_waitcnt vmcnt(0)
	v_add_co_u32_e32 v0, vcc, s2, v42
	s_movk_i32 s2, 0x154
	v_add_co_u32_e32 v1, vcc, s2, v42
	s_movk_i32 s2, 0x1a9
	;; [unrolled: 2-line block ×3, first 2 shown]
	v_mul_lo_u16_sdwa v11, v42, s2 dst_sel:DWORD dst_unused:UNUSED_PAD src0_sel:BYTE_0 src1_sel:DWORD
	v_add_u16_e32 v9, 0x55, v42
	v_lshrrev_b16_e32 v28, 12, v11
	v_mul_lo_u16_sdwa v10, v9, s2 dst_sel:DWORD dst_unused:UNUSED_PAD src0_sel:BYTE_0 src1_sel:DWORD
	v_mul_lo_u16_e32 v3, 17, v28
	v_lshrrev_b16_e32 v30, 12, v10
	v_add_u16_e32 v144, 0xaa, v42
	v_sub_u16_e32 v29, v42, v3
	v_mov_b32_e32 v3, 4
	v_mul_lo_u16_e32 v5, 17, v30
	v_mul_lo_u16_sdwa v8, v144, s2 dst_sel:DWORD dst_unused:UNUSED_PAD src0_sel:BYTE_0 src1_sel:DWORD
	v_lshlrev_b32_sdwa v4, v3, v29 dst_sel:DWORD dst_unused:UNUSED_PAD src0_sel:DWORD src1_sel:BYTE_0
	v_sub_u16_e32 v31, v9, v5
	v_lshrrev_b16_e32 v32, 12, v8
	v_lshlrev_b32_sdwa v5, v3, v31 dst_sel:DWORD dst_unused:UNUSED_PAD src0_sel:DWORD src1_sel:BYTE_0
	global_load_dwordx4 v[47:50], v4, s[8:9]
	global_load_dwordx4 v[43:46], v5, s[8:9]
	v_mul_lo_u16_e32 v4, 17, v32
	s_mov_b32 s2, 0xf0f1
	v_sub_u16_e32 v33, v144, v4
	v_mul_u32_u24_sdwa v4, v0, s2 dst_sel:DWORD dst_unused:UNUSED_PAD src0_sel:WORD_0 src1_sel:DWORD
	v_lshrrev_b32_e32 v34, 20, v4
	v_mul_lo_u16_e32 v4, 17, v34
	v_lshlrev_b32_sdwa v3, v3, v33 dst_sel:DWORD dst_unused:UNUSED_PAD src0_sel:DWORD src1_sel:BYTE_0
	v_sub_u16_e32 v35, v0, v4
	v_lshlrev_b32_e32 v0, 4, v35
	global_load_dwordx4 v[116:119], v3, s[8:9]
	global_load_dwordx4 v[112:115], v0, s[8:9]
	v_mul_u32_u24_sdwa v0, v1, s2 dst_sel:DWORD dst_unused:UNUSED_PAD src0_sel:WORD_0 src1_sel:DWORD
	v_lshrrev_b32_e32 v36, 20, v0
	v_mul_lo_u16_e32 v0, 17, v36
	v_sub_u16_e32 v37, v1, v0
	v_mul_u32_u24_sdwa v1, v2, s2 dst_sel:DWORD dst_unused:UNUSED_PAD src0_sel:WORD_0 src1_sel:DWORD
	v_lshrrev_b32_e32 v38, 20, v1
	v_mul_lo_u16_e32 v1, 17, v38
	v_lshlrev_b32_e32 v0, 4, v37
	v_sub_u16_e32 v39, v2, v1
	global_load_dwordx4 v[124:127], v0, s[8:9]
	v_lshlrev_b32_e32 v0, 4, v39
	global_load_dwordx4 v[128:131], v0, s[8:9]
	v_add_co_u32_e32 v0, vcc, s3, v42
	v_mul_u32_u24_sdwa v1, v0, s2 dst_sel:DWORD dst_unused:UNUSED_PAD src0_sel:WORD_0 src1_sel:DWORD
	v_lshrrev_b32_e32 v40, 20, v1
	v_mul_lo_u16_e32 v1, 17, v40
	v_sub_u16_e32 v41, v0, v1
	v_lshlrev_b32_e32 v0, 4, v41
	global_load_dwordx4 v[120:123], v0, s[8:9]
	v_add_lshl_u32 v255, v224, v42, 4
	ds_read_b128 v[12:15], v255 offset:9520
	ds_read_b128 v[16:19], v255
	ds_read_b128 v[20:23], v255 offset:1360
	ds_read_b128 v[52:55], v255 offset:10880
	;; [unrolled: 1-line block ×12, first 2 shown]
	s_movk_i32 s2, 0x44
	v_cmp_gt_u16_e64 s[2:3], s2, v42
	s_waitcnt vmcnt(6) lgkmcnt(13)
	v_mul_f64 v[0:1], v[14:15], v[49:50]
	s_waitcnt vmcnt(5) lgkmcnt(10)
	v_mul_f64 v[4:5], v[54:55], v[45:46]
	v_mul_f64 v[2:3], v[12:13], v[49:50]
	;; [unrolled: 1-line block ×3, first 2 shown]
	v_fma_f64 v[0:1], v[12:13], v[47:48], -v[0:1]
	buffer_store_dword v47, off, s[64:67], 0 offset:64 ; 4-byte Folded Spill
	s_nop 0
	buffer_store_dword v48, off, s[64:67], 0 offset:68 ; 4-byte Folded Spill
	buffer_store_dword v49, off, s[64:67], 0 offset:72 ; 4-byte Folded Spill
	;; [unrolled: 1-line block ×3, first 2 shown]
	s_waitcnt vmcnt(8) lgkmcnt(9)
	v_mul_f64 v[24:25], v[58:59], v[118:119]
	s_waitcnt vmcnt(7) lgkmcnt(6)
	v_mul_f64 v[100:101], v[70:71], v[114:115]
	v_mul_f64 v[26:27], v[56:57], v[118:119]
	;; [unrolled: 1-line block ×3, first 2 shown]
	v_fma_f64 v[4:5], v[52:53], v[43:44], -v[4:5]
	buffer_store_dword v43, off, s[64:67], 0 offset:48 ; 4-byte Folded Spill
	s_nop 0
	buffer_store_dword v44, off, s[64:67], 0 offset:52 ; 4-byte Folded Spill
	buffer_store_dword v45, off, s[64:67], 0 offset:56 ; 4-byte Folded Spill
	;; [unrolled: 1-line block ×3, first 2 shown]
	v_add_f64 v[12:13], v[16:17], -v[0:1]
	v_fma_f64 v[24:25], v[56:57], v[116:117], -v[24:25]
	buffer_store_dword v116, off, s[64:67], 0 offset:96 ; 4-byte Folded Spill
	s_nop 0
	buffer_store_dword v117, off, s[64:67], 0 offset:100 ; 4-byte Folded Spill
	buffer_store_dword v118, off, s[64:67], 0 offset:104 ; 4-byte Folded Spill
	;; [unrolled: 1-line block ×3, first 2 shown]
	v_fma_f64 v[68:69], v[68:69], v[112:113], -v[100:101]
	buffer_store_dword v112, off, s[64:67], 0 offset:80 ; 4-byte Folded Spill
	s_nop 0
	buffer_store_dword v113, off, s[64:67], 0 offset:84 ; 4-byte Folded Spill
	buffer_store_dword v114, off, s[64:67], 0 offset:88 ; 4-byte Folded Spill
	;; [unrolled: 1-line block ×3, first 2 shown]
	s_waitcnt vmcnt(18) lgkmcnt(5)
	v_mul_f64 v[104:105], v[74:75], v[126:127]
	s_waitcnt vmcnt(17) lgkmcnt(1)
	v_mul_f64 v[108:109], v[90:91], v[130:131]
	v_mul_f64 v[106:107], v[72:73], v[126:127]
	v_mul_f64 v[110:111], v[88:89], v[130:131]
	v_add_f64 v[52:53], v[20:21], -v[4:5]
	v_add_f64 v[56:57], v[60:61], -v[24:25]
	;; [unrolled: 1-line block ×3, first 2 shown]
	v_fma_f64 v[16:17], v[16:17], 2.0, -v[12:13]
	v_fma_f64 v[72:73], v[72:73], v[124:125], -v[104:105]
	s_waitcnt vmcnt(16) lgkmcnt(0)
	v_mul_f64 v[100:101], v[98:99], v[122:123]
	buffer_store_dword v124, off, s[64:67], 0 offset:128 ; 4-byte Folded Spill
	s_nop 0
	buffer_store_dword v125, off, s[64:67], 0 offset:132 ; 4-byte Folded Spill
	buffer_store_dword v126, off, s[64:67], 0 offset:136 ; 4-byte Folded Spill
	;; [unrolled: 1-line block ×3, first 2 shown]
	v_fma_f64 v[88:89], v[88:89], v[128:129], -v[108:109]
	buffer_store_dword v128, off, s[64:67], 0 offset:144 ; 4-byte Folded Spill
	s_nop 0
	buffer_store_dword v129, off, s[64:67], 0 offset:148 ; 4-byte Folded Spill
	buffer_store_dword v130, off, s[64:67], 0 offset:152 ; 4-byte Folded Spill
	buffer_store_dword v131, off, s[64:67], 0 offset:156 ; 4-byte Folded Spill
	v_fma_f64 v[20:21], v[20:21], 2.0, -v[52:53]
	v_fma_f64 v[60:61], v[60:61], 2.0, -v[56:57]
	;; [unrolled: 1-line block ×3, first 2 shown]
	v_add_f64 v[72:73], v[76:77], -v[72:73]
	v_fma_f64 v[0:1], v[96:97], v[120:121], -v[100:101]
	v_fma_f64 v[76:77], v[76:77], 2.0, -v[72:73]
	v_add_f64 v[104:105], v[92:93], -v[0:1]
	v_mul_lo_u16_e32 v0, 34, v28
	v_and_b32_e32 v0, 0xfe, v0
	v_add_u32_sdwa v0, v0, v29 dst_sel:DWORD dst_unused:UNUSED_PAD src0_sel:DWORD src1_sel:BYTE_0
	v_add_lshl_u32 v222, v224, v0, 4
	v_mul_u32_u24_e32 v0, 34, v30
	v_add_u32_sdwa v0, v0, v31 dst_sel:DWORD dst_unused:UNUSED_PAD src0_sel:DWORD src1_sel:BYTE_0
	v_add_lshl_u32 v223, v224, v0, 4
	v_mul_u32_u24_e32 v0, 34, v32
	v_fma_f64 v[108:109], v[92:93], 2.0, -v[104:105]
	v_add_u32_sdwa v0, v0, v33 dst_sel:DWORD dst_unused:UNUSED_PAD src0_sel:DWORD src1_sel:BYTE_0
	v_add_lshl_u32 v0, v224, v0, 4
	v_fma_f64 v[2:3], v[14:15], v[47:48], v[2:3]
	v_fma_f64 v[6:7], v[54:55], v[43:44], v[6:7]
	v_add_f64 v[14:15], v[18:19], -v[2:3]
	v_fma_f64 v[26:27], v[58:59], v[116:117], v[26:27]
	v_fma_f64 v[70:71], v[70:71], v[112:113], v[102:103]
	v_mul_f64 v[102:103], v[96:97], v[122:123]
	buffer_store_dword v120, off, s[64:67], 0 offset:112 ; 4-byte Folded Spill
	s_nop 0
	buffer_store_dword v121, off, s[64:67], 0 offset:116 ; 4-byte Folded Spill
	buffer_store_dword v122, off, s[64:67], 0 offset:120 ; 4-byte Folded Spill
	;; [unrolled: 1-line block ×3, first 2 shown]
	v_add_f64 v[54:55], v[22:23], -v[6:7]
	v_add_f64 v[96:97], v[80:81], -v[88:89]
	v_fma_f64 v[18:19], v[18:19], 2.0, -v[14:15]
	v_add_f64 v[58:59], v[62:63], -v[26:27]
	v_add_f64 v[70:71], v[66:67], -v[70:71]
	s_waitcnt vmcnt(0)
	s_barrier
	v_fma_f64 v[74:75], v[74:75], v[124:125], v[106:107]
	v_fma_f64 v[22:23], v[22:23], 2.0, -v[54:55]
	v_fma_f64 v[90:91], v[90:91], v[128:129], v[110:111]
	v_fma_f64 v[62:63], v[62:63], 2.0, -v[58:59]
	v_fma_f64 v[88:89], v[80:81], 2.0, -v[96:97]
	;; [unrolled: 1-line block ×3, first 2 shown]
	ds_write_b128 v222, v[16:19]
	ds_write_b128 v222, v[12:15] offset:272
	ds_write_b128 v223, v[20:23]
	ds_write_b128 v223, v[52:55] offset:272
	v_add_f64 v[74:75], v[78:79], -v[74:75]
	ds_write_b128 v0, v[60:63]
	buffer_store_dword v0, off, s[64:67], 0 offset:160 ; 4-byte Folded Spill
	ds_write_b128 v0, v[56:59] offset:272
	v_mad_legacy_u16 v0, v34, 34, v35
	v_add_lshl_u32 v58, v224, v0, 4
	v_mad_legacy_u16 v0, v36, 34, v37
	v_add_lshl_u32 v59, v224, v0, 4
	v_fma_f64 v[78:79], v[78:79], 2.0, -v[74:75]
	v_mad_legacy_u16 v0, v38, 34, v39
	v_add_lshl_u32 v0, v224, v0, 4
	ds_write_b128 v58, v[64:67]
	ds_write_b128 v58, v[68:71] offset:272
	ds_write_b128 v59, v[76:79]
	ds_write_b128 v59, v[72:75] offset:272
	buffer_store_dword v0, off, s[64:67], 0 offset:184 ; 4-byte Folded Spill
	v_fma_f64 v[2:3], v[98:99], v[120:121], v[102:103]
	v_add_f64 v[98:99], v[82:83], -v[90:91]
	v_add_f64 v[106:107], v[94:95], -v[2:3]
	v_fma_f64 v[90:91], v[82:83], 2.0, -v[98:99]
	ds_write_b128 v0, v[96:99] offset:272
	v_fma_f64 v[110:111], v[94:95], 2.0, -v[106:107]
	ds_write_b128 v0, v[88:91]
	v_mad_legacy_u16 v0, v40, 34, v41
	v_add_lshl_u32 v0, v224, v0, 4
	buffer_store_dword v0, off, s[64:67], 0 offset:192 ; 4-byte Folded Spill
	ds_write_b128 v0, v[104:107] offset:272
	ds_write_b128 v0, v[108:111]
	s_waitcnt vmcnt(0) lgkmcnt(0)
	s_barrier
	ds_read_b128 v[100:103], v255
	ds_read_b128 v[92:95], v255 offset:1360
	ds_read_b128 v[128:131], v255 offset:3808
	;; [unrolled: 1-line block ×9, first 2 shown]
	s_and_saveexec_b64 s[10:11], s[2:3]
	s_cbranch_execz .LBB0_9
; %bb.8:
	ds_read_b128 v[88:91], v255 offset:2720
	ds_read_b128 v[96:99], v255 offset:6528
	;; [unrolled: 1-line block ×5, first 2 shown]
.LBB0_9:
	s_or_b64 exec, exec, s[10:11]
	buffer_load_dword v1, off, s[64:67], 0  ; 4-byte Folded Reload
	v_lshrrev_b16_e32 v145, 13, v11
	v_mul_lo_u16_e32 v0, 34, v145
	v_lshrrev_b16_e32 v28, 13, v10
	v_lshrrev_b16_e32 v216, 13, v8
	s_mov_b32 s18, 0x134454ff
	s_mov_b32 s19, 0x3fee6f0e
	;; [unrolled: 1-line block ×10, first 2 shown]
	s_waitcnt vmcnt(0)
	v_sub_u16_e32 v146, v1, v0
	v_mov_b32_e32 v0, 6
	v_lshlrev_b32_sdwa v1, v0, v146 dst_sel:DWORD dst_unused:UNUSED_PAD src0_sel:DWORD src1_sel:BYTE_0
	global_load_dwordx4 v[74:77], v1, s[8:9] offset:272
	global_load_dwordx4 v[54:57], v1, s[8:9] offset:288
	;; [unrolled: 1-line block ×4, first 2 shown]
	v_mul_lo_u16_e32 v1, 34, v28
	v_sub_u16_e32 v29, v9, v1
	v_lshlrev_b32_sdwa v1, v0, v29 dst_sel:DWORD dst_unused:UNUSED_PAD src0_sel:DWORD src1_sel:BYTE_0
	global_load_dwordx4 v[50:53], v1, s[8:9] offset:272
	global_load_dwordx4 v[46:49], v1, s[8:9] offset:288
	;; [unrolled: 1-line block ×4, first 2 shown]
	v_mul_lo_u16_e32 v1, 34, v216
	v_sub_u16_e32 v217, v144, v1
	v_lshlrev_b32_sdwa v0, v0, v217 dst_sel:DWORD dst_unused:UNUSED_PAD src0_sel:DWORD src1_sel:BYTE_0
	global_load_dwordx4 v[218:221], v0, s[8:9] offset:272
	global_load_dwordx4 v[38:41], v0, s[8:9] offset:288
	;; [unrolled: 1-line block ×4, first 2 shown]
	s_waitcnt vmcnt(11) lgkmcnt(7)
	v_mul_f64 v[0:1], v[130:131], v[76:77]
	s_waitcnt vmcnt(10) lgkmcnt(5)
	v_mul_f64 v[4:5], v[134:135], v[56:57]
	v_mul_f64 v[6:7], v[132:133], v[56:57]
	s_waitcnt vmcnt(8) lgkmcnt(3)
	v_mul_f64 v[8:9], v[138:139], v[68:69]
	s_waitcnt lgkmcnt(1)
	v_mul_f64 v[12:13], v[142:143], v[64:65]
	s_waitcnt vmcnt(7)
	v_mul_f64 v[16:17], v[114:115], v[52:53]
	s_waitcnt vmcnt(6)
	v_mul_f64 v[20:21], v[118:119], v[48:49]
	s_waitcnt vmcnt(5) lgkmcnt(0)
	v_mul_f64 v[147:148], v[126:127], v[44:45]
	v_mul_f64 v[2:3], v[128:129], v[76:77]
	s_waitcnt vmcnt(2)
	v_mul_f64 v[155:156], v[110:111], v[40:41]
	s_waitcnt vmcnt(1)
	;; [unrolled: 2-line block ×3, first 2 shown]
	v_mul_f64 v[163:164], v[86:87], v[32:33]
	v_fma_f64 v[4:5], v[132:133], v[54:55], -v[4:5]
	buffer_store_dword v54, off, s[64:67], 0 offset:244 ; 4-byte Folded Spill
	s_nop 0
	buffer_store_dword v55, off, s[64:67], 0 offset:248 ; 4-byte Folded Spill
	buffer_store_dword v56, off, s[64:67], 0 offset:252 ; 4-byte Folded Spill
	;; [unrolled: 1-line block ×3, first 2 shown]
	v_mul_f64 v[10:11], v[136:137], v[68:69]
	v_mul_f64 v[14:15], v[140:141], v[64:65]
	;; [unrolled: 1-line block ×8, first 2 shown]
	v_fma_f64 v[0:1], v[128:129], v[74:75], -v[0:1]
	v_fma_f64 v[128:129], v[136:137], v[66:67], -v[8:9]
	;; [unrolled: 1-line block ×4, first 2 shown]
	buffer_store_dword v50, off, s[64:67], 0 offset:216 ; 4-byte Folded Spill
	s_nop 0
	buffer_store_dword v51, off, s[64:67], 0 offset:220 ; 4-byte Folded Spill
	buffer_store_dword v52, off, s[64:67], 0 offset:224 ; 4-byte Folded Spill
	buffer_store_dword v53, off, s[64:67], 0 offset:228 ; 4-byte Folded Spill
	v_fma_f64 v[140:141], v[116:117], v[46:47], -v[20:21]
	buffer_store_dword v46, off, s[64:67], 0 offset:200 ; 4-byte Folded Spill
	s_nop 0
	buffer_store_dword v47, off, s[64:67], 0 offset:204 ; 4-byte Folded Spill
	buffer_store_dword v48, off, s[64:67], 0 offset:208 ; 4-byte Folded Spill
	buffer_store_dword v49, off, s[64:67], 0 offset:212 ; 4-byte Folded Spill
	v_fma_f64 v[147:148], v[124:125], v[42:43], -v[147:148]
	;; [unrolled: 6-line block ×5, first 2 shown]
	buffer_store_dword v30, off, s[64:67], 0 offset:260 ; 4-byte Folded Spill
	s_nop 0
	buffer_store_dword v31, off, s[64:67], 0 offset:264 ; 4-byte Folded Spill
	buffer_store_dword v32, off, s[64:67], 0 offset:268 ; 4-byte Folded Spill
	;; [unrolled: 1-line block ×3, first 2 shown]
	v_fma_f64 v[2:3], v[130:131], v[74:75], v[2:3]
	v_fma_f64 v[130:131], v[138:139], v[66:67], v[10:11]
	v_mul_f64 v[151:152], v[98:99], v[220:221]
	v_mul_f64 v[153:154], v[96:97], v[220:221]
	v_add_f64 v[84:85], v[100:101], v[0:1]
	v_add_f64 v[104:105], v[0:1], -v[4:5]
	v_add_f64 v[108:109], v[0:1], v[132:133]
	v_mul_f64 v[24:25], v[122:123], v[80:81]
	v_mul_f64 v[26:27], v[120:121], v[80:81]
	v_add_f64 v[112:113], v[128:129], -v[132:133]
	v_fma_f64 v[20:21], v[96:97], v[218:219], -v[151:152]
	v_add_f64 v[151:152], v[92:93], v[136:137]
	s_waitcnt vmcnt(0)
	s_barrier
	v_fma_f64 v[24:25], v[120:121], v[78:79], -v[24:25]
	v_fma_f64 v[26:27], v[122:123], v[78:79], v[26:27]
	v_fma_f64 v[6:7], v[134:135], v[54:55], v[6:7]
	;; [unrolled: 1-line block ×3, first 2 shown]
	v_add_f64 v[116:117], v[6:7], v[130:131]
	v_add_f64 v[96:97], v[2:3], -v[134:135]
	v_add_f64 v[120:121], v[2:3], -v[6:7]
	;; [unrolled: 1-line block ×3, first 2 shown]
	v_add_f64 v[124:125], v[2:3], v[134:135]
	v_fma_f64 v[138:139], v[114:115], v[50:51], v[18:19]
	v_add_f64 v[114:115], v[102:103], v[2:3]
	v_fma_f64 v[142:143], v[118:119], v[46:47], v[22:23]
	v_fma_f64 v[22:23], v[98:99], v[218:219], v[153:154]
	v_add_f64 v[98:99], v[6:7], -v[130:131]
	v_add_f64 v[118:119], v[4:5], -v[128:129]
	v_fma_f64 v[18:19], v[110:111], v[38:39], v[157:158]
	v_add_f64 v[110:111], v[4:5], -v[0:1]
	v_fma_f64 v[14:15], v[106:107], v[34:35], v[161:162]
	;; [unrolled: 2-line block ×3, first 2 shown]
	v_add_f64 v[86:87], v[4:5], v[128:129]
	v_add_f64 v[0:1], v[0:1], -v[132:133]
	v_add_f64 v[4:5], v[84:85], v[4:5]
	v_add_f64 v[2:3], v[6:7], -v[2:3]
	v_add_f64 v[110:111], v[110:111], v[112:113]
	v_add_f64 v[6:7], v[114:115], v[6:7]
	v_fma_f64 v[126:127], v[126:127], v[42:43], v[149:150]
	v_add_f64 v[153:154], v[140:141], v[24:25]
	v_fma_f64 v[84:85], v[86:87], -0.5, v[100:101]
	v_add_f64 v[86:87], v[104:105], v[106:107]
	v_fma_f64 v[100:101], v[108:109], -0.5, v[100:101]
	v_fma_f64 v[104:105], v[116:117], -0.5, v[102:103]
	v_add_f64 v[4:5], v[4:5], v[128:129]
	v_add_f64 v[114:115], v[120:121], v[122:123]
	v_fma_f64 v[102:103], v[124:125], -0.5, v[102:103]
	v_add_f64 v[6:7], v[6:7], v[130:131]
	v_fma_f64 v[106:107], v[96:97], s[18:19], v[84:85]
	v_fma_f64 v[84:85], v[96:97], s[22:23], v[84:85]
	;; [unrolled: 1-line block ×6, first 2 shown]
	v_add_f64 v[104:105], v[4:5], v[132:133]
	v_add_f64 v[149:150], v[130:131], -v[134:135]
	v_fma_f64 v[116:117], v[98:99], s[10:11], v[106:107]
	v_fma_f64 v[84:85], v[98:99], s[20:21], v[84:85]
	;; [unrolled: 1-line block ×7, first 2 shown]
	v_add_f64 v[106:107], v[6:7], v[134:135]
	v_fma_f64 v[108:109], v[86:87], s[16:17], v[116:117]
	v_fma_f64 v[112:113], v[86:87], s[16:17], v[84:85]
	;; [unrolled: 1-line block ×4, first 2 shown]
	v_fma_f64 v[6:7], v[153:154], -0.5, v[92:93]
	v_add_f64 v[84:85], v[138:139], -v[126:127]
	v_fma_f64 v[110:111], v[114:115], s[16:17], v[4:5]
	v_fma_f64 v[4:5], v[118:119], s[10:11], v[122:123]
	v_add_f64 v[96:97], v[136:137], v[147:148]
	v_fma_f64 v[86:87], v[0:1], s[20:21], v[124:125]
	v_add_f64 v[2:3], v[2:3], v[149:150]
	v_fma_f64 v[0:1], v[0:1], s[10:11], v[100:101]
	v_add_f64 v[98:99], v[151:152], v[140:141]
	v_fma_f64 v[100:101], v[84:85], s[18:19], v[6:7]
	v_add_f64 v[102:103], v[142:143], -v[26:27]
	v_add_f64 v[124:125], v[136:137], -v[140:141]
	;; [unrolled: 1-line block ×3, first 2 shown]
	v_fma_f64 v[114:115], v[114:115], s[16:17], v[4:5]
	v_fma_f64 v[4:5], v[96:97], -0.5, v[92:93]
	v_fma_f64 v[118:119], v[2:3], s[16:17], v[86:87]
	v_fma_f64 v[122:123], v[2:3], s[16:17], v[0:1]
	v_add_f64 v[0:1], v[98:99], v[24:25]
	v_fma_f64 v[2:3], v[102:103], s[10:11], v[100:101]
	v_fma_f64 v[6:7], v[84:85], s[22:23], v[6:7]
	v_add_f64 v[92:93], v[124:125], v[128:129]
	v_add_f64 v[98:99], v[140:141], -v[136:137]
	v_fma_f64 v[96:97], v[102:103], s[22:23], v[4:5]
	v_add_f64 v[100:101], v[24:25], -v[147:148]
	v_add_f64 v[86:87], v[142:143], v[26:27]
	v_add_f64 v[124:125], v[0:1], v[147:148]
	;; [unrolled: 1-line block ×3, first 2 shown]
	v_add_f64 v[130:131], v[136:137], -v[147:148]
	v_fma_f64 v[128:129], v[92:93], s[16:17], v[2:3]
	v_fma_f64 v[2:3], v[102:103], s[20:21], v[6:7]
	;; [unrolled: 1-line block ×3, first 2 shown]
	v_add_f64 v[132:133], v[98:99], v[100:101]
	v_fma_f64 v[86:87], v[86:87], -0.5, v[94:95]
	v_fma_f64 v[4:5], v[102:103], s[18:19], v[4:5]
	v_add_f64 v[96:97], v[138:139], v[126:127]
	v_add_f64 v[24:25], v[140:141], -v[24:25]
	v_add_f64 v[100:101], v[138:139], -v[142:143]
	;; [unrolled: 1-line block ×3, first 2 shown]
	v_fma_f64 v[136:137], v[92:93], s[16:17], v[2:3]
	v_fma_f64 v[140:141], v[132:133], s[16:17], v[6:7]
	v_add_f64 v[6:7], v[16:17], v[12:13]
	v_add_f64 v[92:93], v[18:19], v[14:15]
	;; [unrolled: 1-line block ×3, first 2 shown]
	v_fma_f64 v[98:99], v[130:131], s[22:23], v[86:87]
	v_fma_f64 v[2:3], v[96:97], -0.5, v[94:95]
	v_fma_f64 v[4:5], v[84:85], s[20:21], v[4:5]
	v_add_f64 v[149:150], v[100:101], v[102:103]
	v_fma_f64 v[100:101], v[130:131], s[18:19], v[86:87]
	v_fma_f64 v[86:87], v[6:7], -0.5, v[88:89]
	v_add_f64 v[84:85], v[22:23], -v[10:11]
	v_fma_f64 v[96:97], v[92:93], -0.5, v[90:91]
	v_add_f64 v[92:93], v[20:21], -v[8:9]
	v_add_f64 v[0:1], v[0:1], v[26:27]
	v_fma_f64 v[134:135], v[24:25], s[20:21], v[98:99]
	v_fma_f64 v[102:103], v[24:25], s[18:19], v[2:3]
	v_add_f64 v[138:139], v[142:143], -v[138:139]
	v_add_f64 v[6:7], v[26:27], -v[126:127]
	;; [unrolled: 1-line block ×5, first 2 shown]
	v_fma_f64 v[147:148], v[84:85], s[22:23], v[86:87]
	v_add_f64 v[98:99], v[16:17], -v[12:13]
	v_add_f64 v[151:152], v[22:23], -v[18:19]
	;; [unrolled: 1-line block ×3, first 2 shown]
	v_fma_f64 v[155:156], v[92:93], s[18:19], v[96:97]
	v_fma_f64 v[2:3], v[24:25], s[22:23], v[2:3]
	;; [unrolled: 1-line block ×4, first 2 shown]
	v_add_f64 v[102:103], v[26:27], v[142:143]
	v_fma_f64 v[26:27], v[94:95], s[20:21], v[147:148]
	v_add_f64 v[6:7], v[138:139], v[6:7]
	v_add_f64 v[100:101], v[151:152], v[153:154]
	v_fma_f64 v[151:152], v[98:99], s[10:11], v[155:156]
	v_fma_f64 v[2:3], v[130:131], s[10:11], v[2:3]
	;; [unrolled: 1-line block ×3, first 2 shown]
	v_add_f64 v[126:127], v[0:1], v[126:127]
	v_fma_f64 v[130:131], v[149:150], s[16:17], v[134:135]
	v_fma_f64 v[138:139], v[149:150], s[16:17], v[24:25]
	;; [unrolled: 1-line block ×5, first 2 shown]
	v_mul_u32_u24_e32 v0, 0xaa, v145
	v_fma_f64 v[149:150], v[6:7], s[16:17], v[2:3]
	v_add_u32_sdwa v0, v0, v146 dst_sel:DWORD dst_unused:UNUSED_PAD src0_sel:DWORD src1_sel:BYTE_0
	v_add_lshl_u32 v0, v224, v0, 4
	ds_write_b128 v0, v[104:107]
	ds_write_b128 v0, v[108:111] offset:544
	ds_write_b128 v0, v[116:119] offset:1088
	;; [unrolled: 1-line block ×3, first 2 shown]
	buffer_store_dword v0, off, s[64:67], 0 offset:232 ; 4-byte Folded Spill
	ds_write_b128 v0, v[112:115] offset:2176
	v_mul_u32_u24_e32 v0, 0xaa, v28
	v_add_u32_sdwa v0, v0, v29 dst_sel:DWORD dst_unused:UNUSED_PAD src0_sel:DWORD src1_sel:BYTE_0
	v_add_lshl_u32 v0, v224, v0, 4
	ds_write_b128 v0, v[124:127]
	ds_write_b128 v0, v[128:131] offset:544
	ds_write_b128 v0, v[140:143] offset:1088
	;; [unrolled: 1-line block ×3, first 2 shown]
	buffer_store_dword v0, off, s[64:67], 0 offset:240 ; 4-byte Folded Spill
	ds_write_b128 v0, v[136:139] offset:2176
	s_mov_b64 s[24:25], exec
	buffer_load_dword v42, off, s[64:67], 0 offset:4 ; 4-byte Folded Reload
	buffer_load_dword v43, off, s[64:67], 0 offset:8 ; 4-byte Folded Reload
	;; [unrolled: 1-line block ×8, first 2 shown]
	s_and_b64 s[26:27], s[24:25], s[2:3]
	s_mov_b64 exec, s[26:27]
	s_cbranch_execz .LBB0_11
; %bb.10:
	v_add_f64 v[0:1], v[22:23], v[10:11]
	v_mul_f64 v[6:7], v[102:103], s[16:17]
	v_add_f64 v[102:103], v[20:21], v[8:9]
	v_mul_f64 v[24:25], v[92:93], s[18:19]
	v_add_f64 v[104:105], v[18:19], -v[22:23]
	v_add_f64 v[22:23], v[90:91], v[22:23]
	v_mul_f64 v[2:3], v[84:85], s[18:19]
	v_mul_f64 v[26:27], v[98:99], s[10:11]
	v_fma_f64 v[0:1], v[0:1], -0.5, v[90:91]
	v_add_f64 v[90:91], v[16:17], -v[20:21]
	v_add_f64 v[20:21], v[88:89], v[20:21]
	v_fma_f64 v[88:89], v[102:103], -0.5, v[88:89]
	v_add_f64 v[24:25], v[96:97], -v[24:25]
	v_add_f64 v[18:19], v[22:23], v[18:19]
	v_mul_f64 v[4:5], v[94:95], s[10:11]
	v_add_f64 v[102:103], v[12:13], -v[8:9]
	v_add_f64 v[2:3], v[86:87], v[2:3]
	v_add_f64 v[106:107], v[14:15], -v[10:11]
	v_add_f64 v[16:17], v[20:21], v[16:17]
	v_fma_f64 v[20:21], v[94:95], s[18:19], v[88:89]
	v_fma_f64 v[22:23], v[94:95], s[22:23], v[88:89]
	;; [unrolled: 1-line block ×4, first 2 shown]
	v_add_f64 v[24:25], v[24:25], -v[26:27]
	v_add_f64 v[14:15], v[18:19], v[14:15]
	v_mul_f64 v[100:101], v[100:101], s[16:17]
	v_add_f64 v[18:19], v[90:91], v[102:103]
	v_fma_f64 v[26:27], v[84:85], s[20:21], v[20:21]
	v_fma_f64 v[22:23], v[84:85], s[10:11], v[22:23]
	v_add_f64 v[84:85], v[16:17], v[12:13]
	v_add_f64 v[2:3], v[4:5], v[2:3]
	;; [unrolled: 1-line block ×3, first 2 shown]
	v_fma_f64 v[0:1], v[92:93], s[20:21], v[0:1]
	v_fma_f64 v[88:89], v[92:93], s[10:11], v[108:109]
	v_add_f64 v[86:87], v[14:15], v[10:11]
	v_add_f64 v[20:21], v[100:101], v[24:25]
	v_fma_f64 v[10:11], v[18:19], s[16:17], v[26:27]
	v_add_f64 v[84:85], v[84:85], v[8:9]
	v_fma_f64 v[14:15], v[18:19], s[16:17], v[22:23]
	;; [unrolled: 2-line block ×3, first 2 shown]
	s_movk_i32 s10, 0xf1
	v_fma_f64 v[12:13], v[104:105], s[16:17], v[88:89]
	v_mul_lo_u16_sdwa v0, v144, s10 dst_sel:DWORD dst_unused:UNUSED_PAD src0_sel:BYTE_0 src1_sel:DWORD
	v_lshrrev_b16_e32 v0, 13, v0
	v_mul_u32_u24_e32 v0, 0xaa, v0
	v_add_u32_sdwa v0, v0, v217 dst_sel:DWORD dst_unused:UNUSED_PAD src0_sel:DWORD src1_sel:BYTE_0
	v_add_lshl_u32 v0, v224, v0, 4
	ds_write_b128 v0, v[84:87]
	ds_write_b128 v0, v[18:21] offset:544
	ds_write_b128 v0, v[14:17] offset:1088
	;; [unrolled: 1-line block ×4, first 2 shown]
.LBB0_11:
	s_or_b64 exec, exec, s[24:25]
	s_waitcnt vmcnt(0) lgkmcnt(0)
	s_barrier
	ds_read_b128 v[136:139], v255
	ds_read_b128 v[8:11], v255 offset:2720
	ds_read_b128 v[12:15], v255 offset:5440
	;; [unrolled: 1-line block ×13, first 2 shown]
	buffer_load_dword v28, off, s[64:67], 0 ; 4-byte Folded Reload
	v_mov_b32_e32 v0, s8
	s_movk_i32 s10, 0x60
	v_mov_b32_e32 v1, s9
	s_mov_b32 s18, 0xe976ee23
	s_mov_b32 s16, 0x429ad128
	;; [unrolled: 1-line block ×16, first 2 shown]
	s_waitcnt vmcnt(0)
	v_mad_u64_u32 v[0:1], s[8:9], v28, s10, v[0:1]
	global_load_dwordx4 v[84:87], v[0:1], off offset:2496
	global_load_dwordx4 v[88:91], v[0:1], off offset:2480
	;; [unrolled: 1-line block ×6, first 2 shown]
	s_movk_i32 s8, 0x1fe0
	v_add_co_u32_e32 v0, vcc, s8, v0
	v_addc_co_u32_e32 v1, vcc, 0, v1, vcc
	s_mov_b32 s8, 0x37e14327
	s_mov_b32 s10, 0x36b3c0b5
	;; [unrolled: 1-line block ×4, first 2 shown]
	s_waitcnt vmcnt(3) lgkmcnt(11)
	v_mul_f64 v[6:7], v[14:15], v[94:95]
	s_waitcnt vmcnt(2)
	v_mul_f64 v[2:3], v[10:11], v[102:103]
	v_mul_f64 v[4:5], v[8:9], v[102:103]
	v_fma_f64 v[6:7], v[12:13], v[92:93], -v[6:7]
	v_fma_f64 v[2:3], v[8:9], v[100:101], -v[2:3]
	v_mul_f64 v[8:9], v[12:13], v[94:95]
	v_fma_f64 v[4:5], v[10:11], v[100:101], v[4:5]
	v_fma_f64 v[24:25], v[14:15], v[92:93], v[8:9]
	s_waitcnt lgkmcnt(10)
	v_mul_f64 v[8:9], v[18:19], v[90:91]
	v_fma_f64 v[26:27], v[16:17], v[88:89], -v[8:9]
	v_mul_f64 v[8:9], v[16:17], v[90:91]
	v_fma_f64 v[160:161], v[18:19], v[88:89], v[8:9]
	s_waitcnt lgkmcnt(9)
	v_mul_f64 v[8:9], v[22:23], v[86:87]
	v_fma_f64 v[162:163], v[20:21], v[84:85], -v[8:9]
	v_mul_f64 v[8:9], v[20:21], v[86:87]
	v_fma_f64 v[168:169], v[22:23], v[84:85], v[8:9]
	s_waitcnt vmcnt(0) lgkmcnt(8)
	v_mul_f64 v[8:9], v[98:99], v[110:111]
	v_fma_f64 v[170:171], v[96:97], v[108:109], -v[8:9]
	v_mul_f64 v[8:9], v[96:97], v[110:111]
	v_fma_f64 v[172:173], v[98:99], v[108:109], v[8:9]
	s_waitcnt lgkmcnt(7)
	v_mul_f64 v[8:9], v[114:115], v[106:107]
	v_fma_f64 v[174:175], v[112:113], v[104:105], -v[8:9]
	v_mul_f64 v[8:9], v[112:113], v[106:107]
	v_fma_f64 v[176:177], v[114:115], v[104:105], v[8:9]
	global_load_dwordx4 v[112:115], v[0:1], off offset:2496
	global_load_dwordx4 v[116:119], v[0:1], off offset:2480
	;; [unrolled: 1-line block ×4, first 2 shown]
	s_waitcnt vmcnt(3) lgkmcnt(2)
	v_mul_f64 v[20:21], v[150:151], v[114:115]
	s_waitcnt vmcnt(2)
	v_mul_f64 v[18:19], v[144:145], v[118:119]
	s_waitcnt vmcnt(1)
	;; [unrolled: 2-line block ×3, first 2 shown]
	v_mul_f64 v[8:9], v[130:131], v[126:127]
	v_mul_f64 v[10:11], v[128:129], v[126:127]
	;; [unrolled: 1-line block ×3, first 2 shown]
	v_fma_f64 v[20:21], v[148:149], v[112:113], -v[20:21]
	v_fma_f64 v[18:19], v[146:147], v[116:117], v[18:19]
	v_fma_f64 v[16:17], v[142:143], v[120:121], v[12:13]
	v_fma_f64 v[8:9], v[128:129], v[124:125], -v[8:9]
	v_fma_f64 v[14:15], v[130:131], v[124:125], v[10:11]
	global_load_dwordx4 v[96:99], v[0:1], off offset:2528
	global_load_dwordx4 v[128:131], v[0:1], off offset:2512
	v_mul_f64 v[10:11], v[142:143], v[122:123]
	v_mul_f64 v[12:13], v[146:147], v[118:119]
	v_add_f64 v[142:143], v[4:5], v[176:177]
	v_add_f64 v[146:147], v[24:25], v[172:173]
	v_fma_f64 v[22:23], v[150:151], v[112:113], v[22:23]
	v_add_f64 v[4:5], v[4:5], -v[176:177]
	v_add_f64 v[24:25], v[24:25], -v[172:173]
	v_add_f64 v[148:149], v[26:27], v[162:163]
	v_fma_f64 v[10:11], v[140:141], v[120:121], -v[10:11]
	v_fma_f64 v[12:13], v[144:145], v[116:117], -v[12:13]
	v_add_f64 v[144:145], v[6:7], v[170:171]
	v_add_f64 v[6:7], v[6:7], -v[170:171]
	v_add_f64 v[150:151], v[160:161], v[168:169]
	v_add_f64 v[26:27], v[162:163], -v[26:27]
	;; [unrolled: 2-line block ×3, first 2 shown]
	s_waitcnt vmcnt(0) lgkmcnt(1)
	v_mul_f64 v[140:141], v[152:153], v[130:131]
	v_mul_f64 v[0:1], v[154:155], v[130:131]
	v_fma_f64 v[178:179], v[154:155], v[128:129], v[140:141]
	s_waitcnt lgkmcnt(0)
	v_mul_f64 v[140:141], v[158:159], v[98:99]
	v_fma_f64 v[0:1], v[152:153], v[128:129], -v[0:1]
	v_add_f64 v[152:153], v[168:169], -v[160:161]
	v_add_f64 v[160:161], v[146:147], -v[142:143]
	v_fma_f64 v[180:181], v[156:157], v[96:97], -v[140:141]
	v_mul_f64 v[140:141], v[156:157], v[98:99]
	v_add_f64 v[156:157], v[146:147], v[142:143]
	v_add_f64 v[142:143], v[142:143], -v[150:151]
	v_add_f64 v[146:147], v[150:151], -v[146:147]
	v_add_f64 v[168:169], v[152:153], v[24:25]
	v_add_f64 v[172:173], v[152:153], -v[24:25]
	v_add_f64 v[24:25], v[24:25], -v[4:5]
	;; [unrolled: 1-line block ×3, first 2 shown]
	v_fma_f64 v[182:183], v[158:159], v[96:97], v[140:141]
	v_add_f64 v[140:141], v[2:3], v[174:175]
	v_add_f64 v[2:3], v[2:3], -v[174:175]
	v_add_f64 v[150:151], v[150:151], v[156:157]
	v_add_f64 v[4:5], v[168:169], v[4:5]
	v_mul_f64 v[142:143], v[142:143], s[8:9]
	v_mul_f64 v[156:157], v[146:147], s[10:11]
	;; [unrolled: 1-line block ×4, first 2 shown]
	v_add_f64 v[154:155], v[144:145], v[140:141]
	v_add_f64 v[158:159], v[144:145], -v[140:141]
	v_add_f64 v[140:141], v[140:141], -v[148:149]
	;; [unrolled: 1-line block ×5, first 2 shown]
	v_add_f64 v[2:3], v[162:163], v[2:3]
	v_add_f64 v[138:139], v[138:139], v[150:151]
	;; [unrolled: 1-line block ×3, first 2 shown]
	v_mul_f64 v[162:163], v[170:171], s[18:19]
	v_mul_f64 v[140:141], v[140:141], s[8:9]
	;; [unrolled: 1-line block ×4, first 2 shown]
	v_fma_f64 v[146:147], v[146:147], s[10:11], v[142:143]
	v_fma_f64 v[156:157], v[160:161], s[22:23], -v[156:157]
	v_fma_f64 v[150:151], v[150:151], s[20:21], v[138:139]
	v_add_f64 v[136:137], v[136:137], v[148:149]
	v_fma_f64 v[142:143], v[160:161], s[26:27], -v[142:143]
	v_fma_f64 v[144:145], v[144:145], s[10:11], v[140:141]
	v_fma_f64 v[154:155], v[158:159], s[22:23], -v[154:155]
	v_fma_f64 v[140:141], v[158:159], s[26:27], -v[140:141]
	v_fma_f64 v[158:159], v[26:27], s[28:29], v[162:163]
	v_fma_f64 v[160:161], v[152:153], s[28:29], v[168:169]
	v_fma_f64 v[6:7], v[6:7], s[16:17], -v[162:163]
	v_fma_f64 v[148:149], v[148:149], s[20:21], v[136:137]
	v_fma_f64 v[24:25], v[24:25], s[16:17], -v[168:169]
	v_fma_f64 v[26:27], v[26:27], s[30:31], -v[170:171]
	;; [unrolled: 1-line block ×3, first 2 shown]
	v_add_f64 v[156:157], v[156:157], v[150:151]
	v_add_f64 v[172:173], v[142:143], v[150:151]
	v_fma_f64 v[174:175], v[2:3], s[24:25], v[158:159]
	v_fma_f64 v[160:161], v[4:5], s[24:25], v[160:161]
	v_add_f64 v[154:155], v[154:155], v[148:149]
	v_add_f64 v[170:171], v[140:141], v[148:149]
	v_fma_f64 v[6:7], v[2:3], s[24:25], v[6:7]
	v_fma_f64 v[24:25], v[4:5], s[24:25], v[24:25]
	;; [unrolled: 1-line block ×4, first 2 shown]
	v_add_f64 v[162:163], v[144:145], v[148:149]
	v_add_f64 v[168:169], v[146:147], v[150:151]
	v_add_f64 v[26:27], v[18:19], v[22:23]
	v_add_f64 v[18:19], v[22:23], -v[18:19]
	v_add_f64 v[150:151], v[6:7], v[156:157]
	v_add_f64 v[148:149], v[154:155], -v[24:25]
	v_add_f64 v[146:147], v[172:173], -v[2:3]
	v_add_f64 v[144:145], v[4:5], v[170:171]
	v_add_f64 v[152:153], v[24:25], v[154:155]
	v_add_f64 v[154:155], v[156:157], -v[6:7]
	v_add_f64 v[156:157], v[170:171], -v[4:5]
	v_add_f64 v[158:159], v[2:3], v[172:173]
	v_add_f64 v[2:3], v[8:9], v[180:181]
	;; [unrolled: 1-line block ×3, first 2 shown]
	v_add_f64 v[6:7], v[8:9], -v[180:181]
	v_add_f64 v[8:9], v[14:15], -v[182:183]
	v_add_f64 v[14:15], v[10:11], v[0:1]
	v_add_f64 v[24:25], v[16:17], v[178:179]
	v_add_f64 v[0:1], v[10:11], -v[0:1]
	v_add_f64 v[10:11], v[16:17], -v[178:179]
	v_add_f64 v[16:17], v[12:13], v[20:21]
	v_add_f64 v[12:13], v[20:21], -v[12:13]
	v_add_f64 v[140:141], v[160:161], v[162:163]
	;; [unrolled: 2-line block ×3, first 2 shown]
	v_add_f64 v[22:23], v[24:25], v[4:5]
	v_add_f64 v[160:161], v[162:163], -v[160:161]
	v_add_f64 v[162:163], v[174:175], v[168:169]
	v_add_f64 v[168:169], v[14:15], -v[2:3]
	v_add_f64 v[170:171], v[24:25], -v[4:5]
	;; [unrolled: 1-line block ×5, first 2 shown]
	v_add_f64 v[172:173], v[12:13], v[0:1]
	v_add_f64 v[176:177], v[12:13], -v[0:1]
	v_add_f64 v[16:17], v[16:17], v[20:21]
	v_add_f64 v[20:21], v[26:27], v[22:23]
	v_add_f64 v[4:5], v[4:5], -v[26:27]
	v_add_f64 v[12:13], v[6:7], -v[12:13]
	;; [unrolled: 1-line block ×3, first 2 shown]
	v_mul_f64 v[26:27], v[24:25], s[10:11]
	v_add_f64 v[6:7], v[172:173], v[6:7]
	v_mul_f64 v[172:173], v[176:177], s[18:19]
	v_add_f64 v[174:175], v[18:19], v[10:11]
	v_add_f64 v[166:167], v[166:167], v[20:21]
	v_add_f64 v[178:179], v[18:19], -v[10:11]
	v_add_f64 v[10:11], v[10:11], -v[8:9]
	v_mul_f64 v[176:177], v[0:1], s[16:17]
	v_fma_f64 v[26:27], v[170:171], s[22:23], -v[26:27]
	v_add_f64 v[18:19], v[8:9], -v[18:19]
	v_fma_f64 v[0:1], v[0:1], s[16:17], -v[172:173]
	v_add_f64 v[8:9], v[174:175], v[8:9]
	v_fma_f64 v[20:21], v[20:21], s[20:21], v[166:167]
	v_mul_f64 v[4:5], v[4:5], s[8:9]
	v_mul_f64 v[174:175], v[178:179], s[18:19]
	;; [unrolled: 1-line block ×3, first 2 shown]
	v_add_f64 v[164:165], v[164:165], v[16:17]
	v_mul_f64 v[2:3], v[2:3], s[8:9]
	v_fma_f64 v[0:1], v[6:7], s[24:25], v[0:1]
	v_mul_f64 v[22:23], v[14:15], s[10:11]
	v_add_f64 v[26:27], v[26:27], v[20:21]
	v_fma_f64 v[24:25], v[24:25], s[10:11], v[4:5]
	v_fma_f64 v[4:5], v[170:171], s[26:27], -v[4:5]
	v_fma_f64 v[170:171], v[18:19], s[28:29], v[174:175]
	v_fma_f64 v[18:19], v[18:19], s[30:31], -v[178:179]
	v_fma_f64 v[16:17], v[16:17], s[20:21], v[164:165]
	v_fma_f64 v[14:15], v[14:15], s[10:11], v[2:3]
	v_fma_f64 v[22:23], v[168:169], s[22:23], -v[22:23]
	v_add_f64 v[178:179], v[0:1], v[26:27]
	v_add_f64 v[182:183], v[26:27], -v[0:1]
	buffer_load_dword v0, off, s[64:67], 0 offset:36 ; 4-byte Folded Reload
	v_fma_f64 v[2:3], v[168:169], s[26:27], -v[2:3]
	v_fma_f64 v[168:169], v[12:13], s[28:29], v[172:173]
	v_fma_f64 v[10:11], v[10:11], s[16:17], -v[174:175]
	v_fma_f64 v[12:13], v[12:13], s[30:31], -v[176:177]
	v_add_f64 v[14:15], v[14:15], v[16:17]
	v_add_f64 v[24:25], v[24:25], v[20:21]
	;; [unrolled: 1-line block ×5, first 2 shown]
	v_fma_f64 v[16:17], v[6:7], s[24:25], v[168:169]
	v_fma_f64 v[20:21], v[8:9], s[24:25], v[170:171]
	;; [unrolled: 1-line block ×5, first 2 shown]
	v_add_f64 v[170:171], v[24:25], -v[16:17]
	v_add_f64 v[168:169], v[20:21], v[14:15]
	v_add_f64 v[176:177], v[22:23], -v[10:11]
	v_add_f64 v[174:175], v[4:5], -v[6:7]
	v_add_f64 v[172:173], v[8:9], v[2:3]
	v_add_f64 v[180:181], v[10:11], v[22:23]
	v_add_f64 v[184:185], v[2:3], -v[8:9]
	v_add_f64 v[186:187], v[6:7], v[4:5]
	v_add_f64 v[188:189], v[14:15], -v[20:21]
	v_add_f64 v[190:191], v[16:17], v[24:25]
	s_waitcnt vmcnt(0)
	v_lshl_add_u32 v224, v28, 4, v0
	ds_write_b128 v224, v[136:139]
	ds_write_b128 v224, v[140:143] offset:2720
	ds_write_b128 v224, v[144:147] offset:5440
	;; [unrolled: 1-line block ×13, first 2 shown]
	s_waitcnt lgkmcnt(0)
	s_barrier
	s_and_saveexec_b64 s[8:9], s[0:1]
	s_cbranch_execz .LBB0_13
; %bb.12:
	buffer_load_dword v0, off, s[64:67], 0  ; 4-byte Folded Reload
	ds_read_b128 v[10:13], v224
	s_movk_i32 s10, 0x5000
	s_waitcnt vmcnt(0)
	v_lshlrev_b32_e32 v0, 4, v0
	v_add_co_u32_e32 v8, vcc, s12, v0
	v_mov_b32_e32 v0, s13
	v_addc_co_u32_e32 v9, vcc, 0, v0, vcc
	v_add_co_u32_e32 v0, vcc, 0x4a60, v8
	v_addc_co_u32_e32 v1, vcc, 0, v9, vcc
	v_add_co_u32_e32 v2, vcc, 0x4000, v8
	v_addc_co_u32_e32 v3, vcc, 0, v9, vcc
	global_load_dwordx4 v[14:17], v[2:3], off offset:2656
	s_waitcnt vmcnt(0) lgkmcnt(0)
	v_mul_f64 v[2:3], v[12:13], v[16:17]
	v_fma_f64 v[18:19], v[10:11], v[14:15], -v[2:3]
	v_mul_f64 v[2:3], v[10:11], v[16:17]
	v_fma_f64 v[20:21], v[12:13], v[14:15], v[2:3]
	global_load_dwordx4 v[14:17], v[0:1], off offset:1120
	ds_read_b128 v[10:13], v224 offset:1120
	ds_write_b128 v224, v[18:21]
	s_waitcnt vmcnt(0) lgkmcnt(1)
	v_mul_f64 v[2:3], v[12:13], v[16:17]
	v_fma_f64 v[18:19], v[10:11], v[14:15], -v[2:3]
	v_mul_f64 v[2:3], v[10:11], v[16:17]
	v_fma_f64 v[20:21], v[12:13], v[14:15], v[2:3]
	global_load_dwordx4 v[14:17], v[0:1], off offset:2240
	ds_read_b128 v[10:13], v224 offset:2240
	ds_write_b128 v224, v[18:21] offset:1120
	s_waitcnt vmcnt(0) lgkmcnt(1)
	v_mul_f64 v[2:3], v[12:13], v[16:17]
	v_fma_f64 v[18:19], v[10:11], v[14:15], -v[2:3]
	v_mul_f64 v[2:3], v[10:11], v[16:17]
	v_fma_f64 v[20:21], v[12:13], v[14:15], v[2:3]
	global_load_dwordx4 v[14:17], v[0:1], off offset:3360
	ds_read_b128 v[10:13], v224 offset:3360
	ds_write_b128 v224, v[18:21] offset:2240
	s_waitcnt vmcnt(0) lgkmcnt(1)
	v_mul_f64 v[0:1], v[12:13], v[16:17]
	v_fma_f64 v[18:19], v[10:11], v[14:15], -v[0:1]
	v_mul_f64 v[0:1], v[10:11], v[16:17]
	v_fma_f64 v[20:21], v[12:13], v[14:15], v[0:1]
	v_add_co_u32_e32 v0, vcc, s10, v8
	v_addc_co_u32_e32 v1, vcc, 0, v9, vcc
	global_load_dwordx4 v[14:17], v[0:1], off offset:3040
	ds_read_b128 v[10:13], v224 offset:4480
	s_movk_i32 s10, 0x6000
	ds_write_b128 v224, v[18:21] offset:3360
	s_waitcnt vmcnt(0) lgkmcnt(1)
	v_mul_f64 v[0:1], v[12:13], v[16:17]
	v_fma_f64 v[18:19], v[10:11], v[14:15], -v[0:1]
	v_mul_f64 v[0:1], v[10:11], v[16:17]
	v_fma_f64 v[20:21], v[12:13], v[14:15], v[0:1]
	v_add_co_u32_e32 v0, vcc, s10, v8
	v_addc_co_u32_e32 v1, vcc, 0, v9, vcc
	global_load_dwordx4 v[14:17], v[0:1], off offset:64
	ds_read_b128 v[10:13], v224 offset:5600
	s_movk_i32 s10, 0x7000
	ds_write_b128 v224, v[18:21] offset:4480
	s_waitcnt vmcnt(0) lgkmcnt(1)
	v_mul_f64 v[2:3], v[12:13], v[16:17]
	v_fma_f64 v[18:19], v[10:11], v[14:15], -v[2:3]
	v_mul_f64 v[2:3], v[10:11], v[16:17]
	v_fma_f64 v[20:21], v[12:13], v[14:15], v[2:3]
	global_load_dwordx4 v[14:17], v[0:1], off offset:1184
	ds_read_b128 v[10:13], v224 offset:6720
	ds_write_b128 v224, v[18:21] offset:5600
	s_waitcnt vmcnt(0) lgkmcnt(1)
	v_mul_f64 v[2:3], v[12:13], v[16:17]
	v_fma_f64 v[18:19], v[10:11], v[14:15], -v[2:3]
	v_mul_f64 v[2:3], v[10:11], v[16:17]
	v_fma_f64 v[20:21], v[12:13], v[14:15], v[2:3]
	global_load_dwordx4 v[14:17], v[0:1], off offset:2304
	ds_read_b128 v[10:13], v224 offset:7840
	;; [unrolled: 8-line block ×3, first 2 shown]
	ds_write_b128 v224, v[18:21] offset:7840
	s_waitcnt vmcnt(0) lgkmcnt(1)
	v_mul_f64 v[0:1], v[12:13], v[16:17]
	v_fma_f64 v[18:19], v[10:11], v[14:15], -v[0:1]
	v_mul_f64 v[0:1], v[10:11], v[16:17]
	v_fma_f64 v[20:21], v[12:13], v[14:15], v[0:1]
	v_add_co_u32_e32 v0, vcc, s10, v8
	v_addc_co_u32_e32 v1, vcc, 0, v9, vcc
	global_load_dwordx4 v[14:17], v[0:1], off offset:448
	ds_read_b128 v[10:13], v224 offset:10080
	s_mov_b32 s10, 0x8000
	ds_write_b128 v224, v[18:21] offset:8960
	s_waitcnt vmcnt(0) lgkmcnt(1)
	v_mul_f64 v[2:3], v[12:13], v[16:17]
	v_fma_f64 v[18:19], v[10:11], v[14:15], -v[2:3]
	v_mul_f64 v[2:3], v[10:11], v[16:17]
	v_fma_f64 v[20:21], v[12:13], v[14:15], v[2:3]
	global_load_dwordx4 v[14:17], v[0:1], off offset:1568
	ds_read_b128 v[10:13], v224 offset:11200
	ds_write_b128 v224, v[18:21] offset:10080
	s_waitcnt vmcnt(0) lgkmcnt(1)
	v_mul_f64 v[2:3], v[12:13], v[16:17]
	v_fma_f64 v[18:19], v[10:11], v[14:15], -v[2:3]
	v_mul_f64 v[2:3], v[10:11], v[16:17]
	v_fma_f64 v[20:21], v[12:13], v[14:15], v[2:3]
	global_load_dwordx4 v[14:17], v[0:1], off offset:2688
	ds_read_b128 v[10:13], v224 offset:12320
	;; [unrolled: 8-line block ×3, first 2 shown]
	ds_write_b128 v224, v[18:21] offset:12320
	s_waitcnt vmcnt(0) lgkmcnt(1)
	v_mul_f64 v[0:1], v[12:13], v[16:17]
	v_fma_f64 v[18:19], v[10:11], v[14:15], -v[0:1]
	v_mul_f64 v[0:1], v[10:11], v[16:17]
	v_fma_f64 v[20:21], v[12:13], v[14:15], v[0:1]
	v_add_co_u32_e32 v0, vcc, s10, v8
	v_addc_co_u32_e32 v1, vcc, 0, v9, vcc
	global_load_dwordx4 v[14:17], v[0:1], off offset:832
	ds_read_b128 v[10:13], v224 offset:14560
	s_mov_b32 s10, 0x9000
	ds_write_b128 v224, v[18:21] offset:13440
	s_waitcnt vmcnt(0) lgkmcnt(1)
	v_mul_f64 v[2:3], v[12:13], v[16:17]
	v_fma_f64 v[18:19], v[10:11], v[14:15], -v[2:3]
	v_mul_f64 v[2:3], v[10:11], v[16:17]
	v_fma_f64 v[20:21], v[12:13], v[14:15], v[2:3]
	global_load_dwordx4 v[14:17], v[0:1], off offset:1952
	ds_read_b128 v[10:13], v224 offset:15680
	ds_write_b128 v224, v[18:21] offset:14560
	s_waitcnt vmcnt(0) lgkmcnt(1)
	v_mul_f64 v[2:3], v[12:13], v[16:17]
	v_fma_f64 v[18:19], v[10:11], v[14:15], -v[2:3]
	v_mul_f64 v[2:3], v[10:11], v[16:17]
	v_fma_f64 v[20:21], v[12:13], v[14:15], v[2:3]
	global_load_dwordx4 v[14:17], v[0:1], off offset:3072
	ds_read_b128 v[10:13], v224 offset:16800
	ds_write_b128 v224, v[18:21] offset:15680
	s_waitcnt vmcnt(0) lgkmcnt(1)
	v_mul_f64 v[0:1], v[12:13], v[16:17]
	v_fma_f64 v[18:19], v[10:11], v[14:15], -v[0:1]
	v_mul_f64 v[0:1], v[10:11], v[16:17]
	v_fma_f64 v[20:21], v[12:13], v[14:15], v[0:1]
	v_add_co_u32_e32 v0, vcc, s10, v8
	v_addc_co_u32_e32 v1, vcc, 0, v9, vcc
	global_load_dwordx4 v[14:17], v[0:1], off offset:96
	ds_read_b128 v[10:13], v224 offset:17920
	ds_write_b128 v224, v[18:21] offset:16800
	s_waitcnt vmcnt(0) lgkmcnt(1)
	v_mul_f64 v[0:1], v[12:13], v[16:17]
	v_fma_f64 v[8:9], v[10:11], v[14:15], -v[0:1]
	v_mul_f64 v[0:1], v[10:11], v[16:17]
	v_fma_f64 v[10:11], v[12:13], v[14:15], v[0:1]
	ds_write_b128 v224, v[8:11] offset:17920
.LBB0_13:
	s_or_b64 exec, exec, s[8:9]
	s_waitcnt lgkmcnt(0)
	s_barrier
	s_and_saveexec_b64 s[8:9], s[0:1]
	s_cbranch_execz .LBB0_15
; %bb.14:
	ds_read_b128 v[136:139], v224
	ds_read_b128 v[140:143], v224 offset:1120
	ds_read_b128 v[144:147], v224 offset:2240
	;; [unrolled: 1-line block ×16, first 2 shown]
.LBB0_15:
	s_or_b64 exec, exec, s[8:9]
	s_waitcnt lgkmcnt(0)
	v_add_f64 v[72:73], v[142:143], -v[44:45]
	s_mov_b32 s16, 0x7c9e640b
	s_mov_b32 s17, 0xbfeca52d
	v_add_f64 v[225:226], v[140:141], v[42:43]
	v_add_f64 v[227:228], v[142:143], v[44:45]
	v_add_f64 v[28:29], v[146:147], -v[48:49]
	s_mov_b32 s8, 0x2b2883cd
	s_mov_b32 s20, 0x6c9a05f6
	v_mul_f64 v[24:25], v[72:73], s[16:17]
	s_mov_b32 s9, 0x3fdc86fa
	s_mov_b32 s21, 0xbfe9895b
	v_add_f64 v[247:248], v[140:141], -v[42:43]
	v_mul_f64 v[26:27], v[227:228], s[8:9]
	v_add_f64 v[231:232], v[144:145], v[46:47]
	v_add_f64 v[233:234], v[146:147], v[48:49]
	v_mul_f64 v[202:203], v[28:29], s[20:21]
	v_fma_f64 v[0:1], v[225:226], s[8:9], -v[24:25]
	s_mov_b32 s10, 0x6ed5f1bb
	s_mov_b32 s11, 0xbfe348c8
	v_add_f64 v[206:207], v[144:145], -v[46:47]
	v_fma_f64 v[2:3], v[247:248], s[16:17], v[26:27]
	v_add_f64 v[253:254], v[150:151], -v[134:135]
	v_mul_f64 v[32:33], v[233:234], s[10:11]
	v_fma_f64 v[4:5], v[231:232], s[10:11], -v[202:203]
	v_add_f64 v[0:1], v[136:137], v[0:1]
	s_mov_b32 s25, 0x3fc7851a
	s_mov_b32 s24, 0xacd6c6b4
	v_add_f64 v[237:238], v[148:149], v[132:133]
	v_add_f64 v[2:3], v[138:139], v[2:3]
	;; [unrolled: 1-line block ×3, first 2 shown]
	v_mul_f64 v[204:205], v[253:254], s[24:25]
	s_mov_b32 s18, 0x7faef3
	v_add_f64 v[0:1], v[4:5], v[0:1]
	v_fma_f64 v[4:5], v[206:207], s[20:21], v[32:33]
	s_mov_b32 s19, 0xbfef7484
	v_add_f64 v[196:197], v[148:149], -v[132:133]
	v_add_f64 v[241:242], v[154:155], -v[190:191]
	v_mul_f64 v[36:37], v[239:240], s[18:19]
	s_mov_b32 s46, 0x923c349f
	s_mov_b32 s47, 0x3feec746
	v_add_f64 v[243:244], v[152:153], v[188:189]
	v_add_f64 v[2:3], v[4:5], v[2:3]
	v_fma_f64 v[4:5], v[237:238], s[18:19], -v[204:205]
	v_add_f64 v[245:246], v[154:155], v[190:191]
	v_mul_f64 v[6:7], v[241:242], s[46:47]
	s_mov_b32 s22, 0xc61f0d01
	s_mov_b32 s23, 0xbfd183b1
	v_add_f64 v[229:230], v[152:153], -v[188:189]
	v_add_f64 v[235:236], v[158:159], -v[186:187]
	s_mov_b32 s48, 0x2a9d6da3
	v_add_f64 v[0:1], v[4:5], v[0:1]
	v_fma_f64 v[4:5], v[196:197], s[24:25], v[36:37]
	v_mul_f64 v[40:41], v[245:246], s[22:23]
	s_mov_b32 s49, 0x3fe58eea
	v_add_f64 v[249:250], v[156:157], v[184:185]
	v_add_f64 v[251:252], v[158:159], v[186:187]
	v_mul_f64 v[30:31], v[235:236], s[48:49]
	s_mov_b32 s28, 0x75d4884
	s_mov_b32 s29, 0x3fe7a5f6
	v_add_f64 v[2:3], v[4:5], v[2:3]
	v_fma_f64 v[4:5], v[243:244], s[22:23], -v[6:7]
	v_add_f64 v[212:213], v[156:157], -v[184:185]
	v_add_f64 v[214:215], v[162:163], -v[182:183]
	v_mul_f64 v[54:55], v[251:252], s[28:29]
	s_mov_b32 s34, 0x5d8e7cdc
	s_mov_b32 s35, 0xbfd71e95
	v_add_f64 v[198:199], v[160:161], v[180:181]
	v_add_f64 v[200:201], v[162:163], v[182:183]
	;; [unrolled: 1-line block ×3, first 2 shown]
	v_fma_f64 v[4:5], v[229:230], s[46:47], v[40:41]
	v_mul_f64 v[34:35], v[214:215], s[34:35]
	s_mov_b32 s30, 0x370991
	s_mov_b32 s31, 0x3fedd6d0
	v_add_f64 v[12:13], v[160:161], -v[180:181]
	v_add_f64 v[14:15], v[166:167], -v[178:179]
	v_mul_f64 v[50:51], v[200:201], s[30:31]
	s_mov_b32 s40, 0xeb564b22
	v_add_f64 v[2:3], v[4:5], v[2:3]
	v_fma_f64 v[4:5], v[249:250], s[28:29], -v[30:31]
	s_mov_b32 s41, 0xbfefdd0d
	v_add_f64 v[208:209], v[164:165], v[176:177]
	v_add_f64 v[210:211], v[166:167], v[178:179]
	v_mul_f64 v[38:39], v[14:15], s[40:41]
	s_mov_b32 s36, 0x3259b75e
	s_mov_b32 s37, 0x3fb79ee6
	v_add_f64 v[16:17], v[164:165], -v[176:177]
	v_add_f64 v[0:1], v[4:5], v[0:1]
	v_fma_f64 v[4:5], v[212:213], s[48:49], v[54:55]
	v_add_f64 v[20:21], v[170:171], -v[174:175]
	v_mul_f64 v[56:57], v[210:211], s[36:37]
	s_mov_b32 s42, 0x4363dd80
	s_mov_b32 s43, 0xbfe0d888
	v_add_f64 v[8:9], v[168:169], v[172:173]
	v_add_f64 v[10:11], v[170:171], v[174:175]
	v_add_f64 v[18:19], v[168:169], -v[172:173]
	v_add_f64 v[2:3], v[4:5], v[2:3]
	v_fma_f64 v[4:5], v[198:199], s[30:31], -v[34:35]
	v_mul_f64 v[52:53], v[20:21], s[42:43]
	s_barrier
	v_mul_f64 v[82:83], v[10:11], s[38:39]
	v_add_f64 v[0:1], v[4:5], v[0:1]
	v_fma_f64 v[4:5], v[12:13], s[34:35], v[50:51]
	v_add_f64 v[2:3], v[4:5], v[2:3]
	v_fma_f64 v[4:5], v[208:209], s[36:37], -v[38:39]
	v_add_f64 v[0:1], v[4:5], v[0:1]
	v_fma_f64 v[4:5], v[16:17], s[40:41], v[56:57]
	v_add_f64 v[2:3], v[4:5], v[2:3]
	v_fma_f64 v[4:5], v[8:9], s[38:39], -v[52:53]
	v_add_f64 v[192:193], v[4:5], v[0:1]
	v_fma_f64 v[0:1], v[18:19], s[42:43], v[82:83]
	v_add_f64 v[194:195], v[0:1], v[2:3]
	s_and_saveexec_b64 s[26:27], s[0:1]
	s_cbranch_execz .LBB0_17
; %bb.16:
	v_mul_f64 v[0:1], v[196:197], s[24:25]
	s_mov_b32 s25, 0xbfc7851a
	v_mul_f64 v[2:3], v[247:248], s[24:25]
	s_mov_b32 s51, 0x3fd71e95
	s_mov_b32 s50, s34
	v_mul_f64 v[22:23], v[28:29], s[50:51]
	s_mov_b32 s53, 0x3feca52d
	s_mov_b32 s52, s16
	buffer_store_dword v0, off, s[64:67], 0 offset:340 ; 4-byte Folded Spill
	s_nop 0
	buffer_store_dword v1, off, s[64:67], 0 offset:344 ; 4-byte Folded Spill
	buffer_store_dword v6, off, s[64:67], 0 offset:404 ; 4-byte Folded Spill
	s_nop 0
	buffer_store_dword v7, off, s[64:67], 0 offset:408 ; 4-byte Folded Spill
	;; [unrolled: 3-line block ×4, first 2 shown]
	v_mul_f64 v[26:27], v[72:73], s[24:25]
	buffer_store_dword v216, off, s[64:67], 0 offset:308 ; 4-byte Folded Spill
	buffer_store_dword v217, off, s[64:67], 0 offset:312 ; 4-byte Folded Spill
	buffer_store_dword v218, off, s[64:67], 0 offset:316 ; 4-byte Folded Spill
	s_nop 0
	buffer_store_dword v219, off, s[64:67], 0 offset:320 ; 4-byte Folded Spill
	buffer_store_dword v220, off, s[64:67], 0 offset:324 ; 4-byte Folded Spill
	;; [unrolled: 1-line block ×6, first 2 shown]
	s_nop 0
	buffer_store_dword v83, off, s[64:67], 0 offset:488 ; 4-byte Folded Spill
	buffer_store_dword v56, off, s[64:67], 0 offset:476 ; 4-byte Folded Spill
	s_nop 0
	buffer_store_dword v57, off, s[64:67], 0 offset:480 ; 4-byte Folded Spill
	v_mov_b32_e32 v57, v29
	v_mul_f64 v[6:7], v[206:207], s[50:51]
	v_fma_f64 v[216:217], v[227:228], s[18:19], v[2:3]
	v_mov_b32_e32 v56, v28
	v_fma_f64 v[28:29], v[225:226], s[18:19], -v[26:27]
	buffer_store_dword v30, off, s[64:67], 0 offset:428 ; 4-byte Folded Spill
	s_nop 0
	buffer_store_dword v31, off, s[64:67], 0 offset:432 ; 4-byte Folded Spill
	buffer_store_dword v32, off, s[64:67], 0 offset:524 ; 4-byte Folded Spill
	s_nop 0
	buffer_store_dword v33, off, s[64:67], 0 offset:528 ; 4-byte Folded Spill
	;; [unrolled: 3-line block ×6, first 2 shown]
	v_mul_f64 v[220:221], v[196:197], s[42:43]
	v_fma_f64 v[222:223], v[233:234], s[30:31], v[6:7]
	v_add_f64 v[30:31], v[138:139], v[216:217]
	v_mul_f64 v[38:39], v[253:254], s[42:43]
	v_fma_f64 v[40:41], v[231:232], s[30:31], -v[22:23]
	v_add_f64 v[28:29], v[136:137], v[28:29]
	buffer_store_dword v42, off, s[64:67], 0 offset:4 ; 4-byte Folded Spill
	s_nop 0
	buffer_store_dword v43, off, s[64:67], 0 offset:8 ; 4-byte Folded Spill
	buffer_store_dword v44, off, s[64:67], 0 offset:12 ; 4-byte Folded Spill
	;; [unrolled: 1-line block ×4, first 2 shown]
	s_nop 0
	buffer_store_dword v47, off, s[64:67], 0 offset:24 ; 4-byte Folded Spill
	buffer_store_dword v48, off, s[64:67], 0 offset:28 ; 4-byte Folded Spill
	;; [unrolled: 1-line block ×3, first 2 shown]
	v_mul_f64 v[32:33], v[229:230], s[48:49]
	v_fma_f64 v[36:37], v[239:240], s[38:39], v[220:221]
	v_add_f64 v[30:31], v[222:223], v[30:31]
	v_fma_f64 v[2:3], v[227:228], s[18:19], -v[2:3]
	v_mul_f64 v[44:45], v[241:242], s[48:49]
	v_fma_f64 v[46:47], v[237:238], s[38:39], -v[38:39]
	v_fma_f64 v[26:27], v[225:226], s[18:19], v[26:27]
	v_add_f64 v[28:29], v[40:41], v[28:29]
	v_mul_f64 v[216:217], v[212:213], s[20:21]
	v_fma_f64 v[222:223], v[245:246], s[28:29], v[32:33]
	v_add_f64 v[30:31], v[36:37], v[30:31]
	v_mul_f64 v[36:37], v[235:236], s[20:21]
	v_fma_f64 v[6:7], v[233:234], s[30:31], -v[6:7]
	v_add_f64 v[2:3], v[138:139], v[2:3]
	v_fma_f64 v[40:41], v[243:244], s[28:29], -v[44:45]
	v_fma_f64 v[22:23], v[231:232], s[30:31], v[22:23]
	v_add_f64 v[26:27], v[136:137], v[26:27]
	v_add_f64 v[28:29], v[46:47], v[28:29]
	v_fma_f64 v[42:43], v[251:252], s[10:11], v[216:217]
	v_add_f64 v[30:31], v[222:223], v[30:31]
	v_mul_f64 v[46:47], v[214:215], s[52:53]
	v_fma_f64 v[220:221], v[239:240], s[38:39], -v[220:221]
	v_add_f64 v[2:3], v[6:7], v[2:3]
	v_fma_f64 v[6:7], v[249:250], s[10:11], -v[36:37]
	v_add_f64 v[22:23], v[22:23], v[26:27]
	v_add_f64 v[26:27], v[40:41], v[28:29]
	s_mov_b32 s45, 0xbfeec746
	s_mov_b32 s44, s46
	v_add_f64 v[28:29], v[42:43], v[30:31]
	v_mul_f64 v[30:31], v[14:15], s[44:45]
	v_fma_f64 v[32:33], v[245:246], s[28:29], -v[32:33]
	v_add_f64 v[2:3], v[220:221], v[2:3]
	v_fma_f64 v[40:41], v[198:199], s[8:9], -v[46:47]
	v_add_f64 v[6:7], v[6:7], v[26:27]
	v_mul_f64 v[218:219], v[12:13], s[52:53]
	v_fma_f64 v[38:39], v[237:238], s[38:39], v[38:39]
	v_mul_f64 v[0:1], v[16:17], s[44:45]
	v_fma_f64 v[42:43], v[243:244], s[28:29], v[44:45]
	s_mov_b32 s57, 0x3fefdd0d
	v_add_f64 v[2:3], v[32:33], v[2:3]
	v_fma_f64 v[32:33], v[208:209], s[22:23], -v[30:31]
	v_add_f64 v[6:7], v[40:41], v[6:7]
	v_fma_f64 v[34:35], v[200:201], s[8:9], v[218:219]
	v_add_f64 v[22:23], v[38:39], v[22:23]
	s_mov_b32 s56, s40
	v_mul_f64 v[4:5], v[18:19], s[56:57]
	v_fma_f64 v[24:25], v[210:211], s[22:23], v[0:1]
	v_fma_f64 v[36:37], v[249:250], s[10:11], v[36:37]
	;; [unrolled: 1-line block ×3, first 2 shown]
	v_add_f64 v[6:7], v[32:33], v[6:7]
	v_mul_f64 v[32:33], v[225:226], s[8:9]
	v_add_f64 v[26:27], v[34:35], v[28:29]
	v_add_f64 v[22:23], v[42:43], v[22:23]
	buffer_store_dword v32, off, s[64:67], 0 offset:532 ; 4-byte Folded Spill
	s_nop 0
	buffer_store_dword v33, off, s[64:67], 0 offset:536 ; 4-byte Folded Spill
	v_mul_f64 v[28:29], v[20:21], s[56:57]
	v_fma_f64 v[34:35], v[251:252], s[10:11], -v[216:217]
	v_mul_f64 v[32:33], v[247:248], s[16:17]
	v_fma_f64 v[38:39], v[10:11], s[36:37], v[4:5]
	v_add_f64 v[24:25], v[24:25], v[26:27]
	v_add_f64 v[22:23], v[36:37], v[22:23]
	buffer_store_dword v32, off, s[64:67], 0 offset:580 ; 4-byte Folded Spill
	s_nop 0
	buffer_store_dword v33, off, s[64:67], 0 offset:584 ; 4-byte Folded Spill
	v_add_f64 v[2:3], v[34:35], v[2:3]
	v_fma_f64 v[34:35], v[8:9], s[36:37], -v[28:29]
	v_fma_f64 v[26:27], v[200:201], s[8:9], -v[218:219]
	v_add_f64 v[32:33], v[38:39], v[24:25]
	v_fma_f64 v[24:25], v[208:209], s[22:23], v[30:31]
	v_add_f64 v[22:23], v[40:41], v[22:23]
	v_fma_f64 v[0:1], v[210:211], s[22:23], -v[0:1]
	v_mul_f64 v[42:43], v[56:57], s[52:53]
	v_mul_f64 v[38:39], v[196:197], s[40:41]
	v_add_f64 v[30:31], v[34:35], v[6:7]
	v_add_f64 v[2:3], v[26:27], v[2:3]
	v_mul_f64 v[6:7], v[247:248], s[42:43]
	buffer_store_dword v30, off, s[64:67], 0 offset:356 ; 4-byte Folded Spill
	s_nop 0
	buffer_store_dword v31, off, s[64:67], 0 offset:360 ; 4-byte Folded Spill
	buffer_store_dword v32, off, s[64:67], 0 offset:364 ; 4-byte Folded Spill
	;; [unrolled: 1-line block ×3, first 2 shown]
	v_add_f64 v[22:23], v[24:25], v[22:23]
	v_mul_f64 v[24:25], v[72:73], s[42:43]
	v_add_f64 v[0:1], v[0:1], v[2:3]
	v_fma_f64 v[2:3], v[8:9], s[36:37], v[28:29]
	v_mul_f64 v[28:29], v[206:207], s[52:53]
	v_fma_f64 v[30:31], v[227:228], s[38:39], v[6:7]
	v_mul_f64 v[218:219], v[253:254], s[40:41]
	v_fma_f64 v[220:221], v[231:232], s[8:9], -v[42:43]
	s_mov_b32 s59, 0x3fe9895b
	v_fma_f64 v[44:45], v[225:226], s[38:39], -v[24:25]
	s_mov_b32 s58, s20
	buffer_store_dword v50, off, s[64:67], 0 offset:588 ; 4-byte Folded Spill
	s_nop 0
	buffer_store_dword v51, off, s[64:67], 0 offset:592 ; 4-byte Folded Spill
	v_fma_f64 v[40:41], v[233:234], s[8:9], v[28:29]
	v_add_f64 v[30:31], v[138:139], v[30:31]
	buffer_store_dword v52, off, s[64:67], 0 offset:540 ; 4-byte Folded Spill
	s_nop 0
	buffer_store_dword v53, off, s[64:67], 0 offset:544 ; 4-byte Folded Spill
	v_mul_f64 v[46:47], v[229:230], s[58:59]
	v_fma_f64 v[216:217], v[239:240], s[36:37], v[38:39]
	v_add_f64 v[44:45], v[136:137], v[44:45]
	v_fma_f64 v[6:7], v[227:228], s[38:39], -v[6:7]
	v_mul_f64 v[50:51], v[241:242], s[58:59]
	v_fma_f64 v[52:53], v[237:238], s[36:37], -v[218:219]
	v_add_f64 v[30:31], v[40:41], v[30:31]
	v_mul_f64 v[40:41], v[212:213], s[34:35]
	v_fma_f64 v[48:49], v[245:246], s[10:11], v[46:47]
	v_fma_f64 v[24:25], v[225:226], s[38:39], v[24:25]
	v_add_f64 v[44:45], v[220:221], v[44:45]
	v_fma_f64 v[28:29], v[233:234], s[8:9], -v[28:29]
	v_add_f64 v[6:7], v[138:139], v[6:7]
	v_fma_f64 v[220:221], v[243:244], s[10:11], -v[50:51]
	v_add_f64 v[30:31], v[216:217], v[30:31]
	v_mul_f64 v[216:217], v[235:236], s[34:35]
	buffer_store_dword v54, off, s[64:67], 0 offset:596 ; 4-byte Folded Spill
	s_nop 0
	buffer_store_dword v55, off, s[64:67], 0 offset:600 ; 4-byte Folded Spill
	v_mul_f64 v[36:37], v[12:13], s[24:25]
	v_add_f64 v[44:45], v[52:53], v[44:45]
	v_fma_f64 v[54:55], v[251:252], s[30:31], v[40:41]
	v_fma_f64 v[42:43], v[231:232], s[8:9], v[42:43]
	v_add_f64 v[24:25], v[136:137], v[24:25]
	v_add_f64 v[30:31], v[48:49], v[30:31]
	v_fma_f64 v[38:39], v[239:240], s[36:37], -v[38:39]
	v_add_f64 v[6:7], v[28:29], v[6:7]
	v_mul_f64 v[28:29], v[214:215], s[24:25]
	v_fma_f64 v[48:49], v[249:250], s[30:31], -v[216:217]
	v_add_f64 v[44:45], v[220:221], v[44:45]
	v_mul_f64 v[26:27], v[16:17], s[48:49]
	v_fma_f64 v[222:223], v[200:201], s[18:19], v[36:37]
	v_add_f64 v[30:31], v[54:55], v[30:31]
	v_fma_f64 v[52:53], v[237:238], s[36:37], v[218:219]
	v_add_f64 v[24:25], v[42:43], v[24:25]
	v_fma_f64 v[42:43], v[245:246], s[10:11], -v[46:47]
	v_add_f64 v[6:7], v[38:39], v[6:7]
	v_mul_f64 v[38:39], v[14:15], s[48:49]
	v_fma_f64 v[46:47], v[198:199], s[18:19], -v[28:29]
	v_add_f64 v[44:45], v[48:49], v[44:45]
	v_mul_f64 v[32:33], v[18:19], s[44:45]
	v_fma_f64 v[34:35], v[210:211], s[28:29], v[26:27]
	v_add_f64 v[30:31], v[222:223], v[30:31]
	v_fma_f64 v[48:49], v[243:244], s[10:11], v[50:51]
	v_add_f64 v[24:25], v[52:53], v[24:25]
	v_fma_f64 v[40:41], v[251:252], s[30:31], -v[40:41]
	v_add_f64 v[6:7], v[42:43], v[6:7]
	v_mul_f64 v[42:43], v[20:21], s[44:45]
	v_fma_f64 v[50:51], v[208:209], s[28:29], -v[38:39]
	v_add_f64 v[44:45], v[46:47], v[44:45]
	v_fma_f64 v[4:5], v[10:11], s[36:37], -v[4:5]
	v_fma_f64 v[46:47], v[10:11], s[22:23], v[32:33]
	v_fma_f64 v[52:53], v[249:250], s[30:31], v[216:217]
	v_add_f64 v[24:25], v[48:49], v[24:25]
	v_add_f64 v[6:7], v[40:41], v[6:7]
	;; [unrolled: 1-line block ×3, first 2 shown]
	v_fma_f64 v[34:35], v[8:9], s[22:23], -v[42:43]
	v_add_f64 v[40:41], v[50:51], v[44:45]
	v_add_f64 v[50:51], v[4:5], v[0:1]
	v_fma_f64 v[0:1], v[198:199], s[18:19], v[28:29]
	v_add_f64 v[48:49], v[2:3], v[22:23]
	v_add_f64 v[4:5], v[52:53], v[24:25]
	v_fma_f64 v[24:25], v[210:211], s[28:29], -v[26:27]
	v_add_f64 v[28:29], v[46:47], v[30:31]
	v_fma_f64 v[36:37], v[200:201], s[18:19], -v[36:37]
	v_add_f64 v[26:27], v[34:35], v[40:41]
	buffer_store_dword v48, off, s[64:67], 0 offset:388 ; 4-byte Folded Spill
	s_nop 0
	buffer_store_dword v49, off, s[64:67], 0 offset:392 ; 4-byte Folded Spill
	buffer_store_dword v50, off, s[64:67], 0 offset:396 ; 4-byte Folded Spill
	buffer_store_dword v51, off, s[64:67], 0 offset:400 ; 4-byte Folded Spill
	buffer_store_dword v26, off, s[64:67], 0 offset:372 ; 4-byte Folded Spill
	s_nop 0
	buffer_store_dword v27, off, s[64:67], 0 offset:376 ; 4-byte Folded Spill
	buffer_store_dword v28, off, s[64:67], 0 offset:380 ; 4-byte Folded Spill
	;; [unrolled: 1-line block ×3, first 2 shown]
	v_add_f64 v[6:7], v[36:37], v[6:7]
	v_mul_f64 v[2:3], v[247:248], s[20:21]
	v_mul_f64 v[28:29], v[72:73], s[20:21]
	v_fma_f64 v[22:23], v[208:209], s[28:29], v[38:39]
	v_mul_f64 v[38:39], v[56:57], s[46:47]
	v_mul_f64 v[34:35], v[196:197], s[34:35]
	;; [unrolled: 1-line block ×4, first 2 shown]
	v_add_f64 v[6:7], v[24:25], v[6:7]
	v_mul_f64 v[24:25], v[206:207], s[46:47]
	v_fma_f64 v[30:31], v[227:228], s[10:11], v[2:3]
	v_fma_f64 v[40:41], v[225:226], s[10:11], -v[28:29]
	v_fma_f64 v[50:51], v[231:232], s[22:23], -v[38:39]
	;; [unrolled: 1-line block ×3, first 2 shown]
	v_fma_f64 v[46:47], v[239:240], s[30:31], v[34:35]
	v_mul_f64 v[54:55], v[241:242], s[42:43]
	v_fma_f64 v[216:217], v[237:238], s[30:31], -v[48:49]
	v_fma_f64 v[36:37], v[233:234], s[22:23], v[24:25]
	v_add_f64 v[30:31], v[138:139], v[30:31]
	v_add_f64 v[40:41], v[136:137], v[40:41]
	v_fma_f64 v[24:25], v[233:234], s[22:23], -v[24:25]
	v_add_f64 v[2:3], v[138:139], v[2:3]
	v_fma_f64 v[52:53], v[245:246], s[38:39], v[44:45]
	v_mul_f64 v[218:219], v[235:236], s[56:57]
	v_fma_f64 v[220:221], v[243:244], s[38:39], -v[54:55]
	v_fma_f64 v[34:35], v[239:240], s[30:31], -v[34:35]
	v_add_f64 v[30:31], v[36:37], v[30:31]
	v_add_f64 v[40:41], v[50:51], v[40:41]
	v_mul_f64 v[36:37], v[212:213], s[56:57]
	v_fma_f64 v[28:29], v[225:226], s[10:11], v[28:29]
	v_add_f64 v[2:3], v[24:25], v[2:3]
	s_mov_b32 s55, 0xbfe58eea
	s_mov_b32 s54, s48
	v_mul_f64 v[24:25], v[214:215], s[54:55]
	v_add_f64 v[30:31], v[46:47], v[30:31]
	v_add_f64 v[40:41], v[216:217], v[40:41]
	v_mul_f64 v[46:47], v[12:13], s[54:55]
	v_fma_f64 v[50:51], v[251:252], s[36:37], v[36:37]
	v_fma_f64 v[216:217], v[249:250], s[36:37], -v[218:219]
	v_fma_f64 v[44:45], v[245:246], s[38:39], -v[44:45]
	v_fma_f64 v[38:39], v[231:232], s[22:23], v[38:39]
	v_add_f64 v[28:29], v[136:137], v[28:29]
	v_add_f64 v[30:31], v[52:53], v[30:31]
	;; [unrolled: 1-line block ×4, first 2 shown]
	v_fma_f64 v[52:53], v[200:201], s[28:29], v[46:47]
	v_mul_f64 v[34:35], v[14:15], s[24:25]
	v_fma_f64 v[36:37], v[251:252], s[36:37], -v[36:37]
	v_fma_f64 v[48:49], v[237:238], s[30:31], v[48:49]
	v_add_f64 v[28:29], v[38:39], v[28:29]
	v_add_f64 v[30:31], v[50:51], v[30:31]
	v_fma_f64 v[50:51], v[198:199], s[28:29], -v[24:25]
	v_add_f64 v[40:41], v[216:217], v[40:41]
	v_add_f64 v[2:3], v[44:45], v[2:3]
	;; [unrolled: 1-line block ×3, first 2 shown]
	v_fma_f64 v[4:5], v[10:11], s[22:23], -v[32:33]
	v_mul_f64 v[32:33], v[16:17], s[24:25]
	v_fma_f64 v[44:45], v[208:209], s[18:19], -v[34:35]
	v_add_f64 v[30:31], v[52:53], v[30:31]
	v_fma_f64 v[46:47], v[200:201], s[28:29], -v[46:47]
	v_add_f64 v[40:41], v[50:51], v[40:41]
	v_fma_f64 v[52:53], v[243:244], s[38:39], v[54:55]
	v_add_f64 v[28:29], v[48:49], v[28:29]
	v_add_f64 v[2:3], v[36:37], v[2:3]
	v_fma_f64 v[26:27], v[8:9], s[22:23], v[42:43]
	v_add_f64 v[0:1], v[22:23], v[0:1]
	v_mul_f64 v[22:23], v[18:19], s[52:53]
	v_fma_f64 v[42:43], v[210:211], s[18:19], v[32:33]
	v_mul_f64 v[38:39], v[20:21], s[52:53]
	v_add_f64 v[40:41], v[44:45], v[40:41]
	v_add_f64 v[44:45], v[4:5], v[6:7]
	v_fma_f64 v[4:5], v[210:211], s[18:19], -v[32:33]
	v_fma_f64 v[6:7], v[249:250], s[36:37], v[218:219]
	v_add_f64 v[28:29], v[52:53], v[28:29]
	v_add_f64 v[2:3], v[46:47], v[2:3]
	v_fma_f64 v[50:51], v[10:11], s[8:9], v[22:23]
	v_add_f64 v[30:31], v[42:43], v[30:31]
	v_fma_f64 v[36:37], v[8:9], s[8:9], -v[38:39]
	v_add_f64 v[42:43], v[26:27], v[0:1]
	v_fma_f64 v[0:1], v[10:11], s[8:9], -v[22:23]
	v_mul_f64 v[22:23], v[247:248], s[44:45]
	v_fma_f64 v[24:25], v[198:199], s[28:29], v[24:25]
	v_add_f64 v[6:7], v[6:7], v[28:29]
	v_add_f64 v[2:3], v[4:5], v[2:3]
	v_mul_f64 v[4:5], v[72:73], s[44:45]
	v_add_f64 v[32:33], v[50:51], v[30:31]
	v_add_f64 v[30:31], v[36:37], v[40:41]
	s_mov_b32 s61, 0x3fe0d888
	s_mov_b32 s60, s42
	v_mul_f64 v[26:27], v[206:207], s[60:61]
	v_fma_f64 v[28:29], v[227:228], s[22:23], v[22:23]
	v_add_f64 v[6:7], v[24:25], v[6:7]
	v_add_f64 v[218:219], v[0:1], v[2:3]
	v_mul_f64 v[2:3], v[56:57], s[60:61]
	v_fma_f64 v[24:25], v[225:226], s[22:23], -v[4:5]
	buffer_store_dword v42, off, s[64:67], 0 offset:460 ; 4-byte Folded Spill
	s_nop 0
	buffer_store_dword v43, off, s[64:67], 0 offset:464 ; 4-byte Folded Spill
	buffer_store_dword v44, off, s[64:67], 0 offset:468 ; 4-byte Folded Spill
	;; [unrolled: 1-line block ×4, first 2 shown]
	s_nop 0
	buffer_store_dword v31, off, s[64:67], 0 offset:448 ; 4-byte Folded Spill
	buffer_store_dword v32, off, s[64:67], 0 offset:452 ; 4-byte Folded Spill
	;; [unrolled: 1-line block ×3, first 2 shown]
	v_fma_f64 v[30:31], v[208:209], s[18:19], v[34:35]
	v_mul_f64 v[0:1], v[196:197], s[48:49]
	v_fma_f64 v[32:33], v[233:234], s[38:39], v[26:27]
	v_add_f64 v[28:29], v[138:139], v[28:29]
	v_fma_f64 v[34:35], v[8:9], s[8:9], v[38:39]
	v_mul_f64 v[36:37], v[253:254], s[48:49]
	v_fma_f64 v[38:39], v[231:232], s[38:39], -v[2:3]
	v_add_f64 v[24:25], v[136:137], v[24:25]
	v_add_f64 v[6:7], v[30:31], v[6:7]
	v_mul_f64 v[30:31], v[229:230], s[16:17]
	v_fma_f64 v[40:41], v[239:240], s[28:29], v[0:1]
	v_add_f64 v[28:29], v[32:33], v[28:29]
	v_mul_f64 v[46:47], v[241:242], s[16:17]
	v_fma_f64 v[48:49], v[237:238], s[28:29], -v[36:37]
	v_mul_f64 v[44:45], v[212:213], s[24:25]
	v_add_f64 v[24:25], v[38:39], v[24:25]
	v_fma_f64 v[22:23], v[227:228], s[22:23], -v[22:23]
	v_fma_f64 v[38:39], v[245:246], s[8:9], v[30:31]
	v_mul_f64 v[50:51], v[12:13], s[56:57]
	v_add_f64 v[28:29], v[40:41], v[28:29]
	v_fma_f64 v[54:55], v[243:244], s[8:9], -v[46:47]
	v_fma_f64 v[26:27], v[233:234], s[38:39], -v[26:27]
	v_fma_f64 v[52:53], v[251:252], s[18:19], v[44:45]
	v_add_f64 v[24:25], v[48:49], v[24:25]
	v_mul_f64 v[48:49], v[235:236], s[24:25]
	v_add_f64 v[22:23], v[138:139], v[22:23]
	v_fma_f64 v[4:5], v[225:226], s[22:23], v[4:5]
	v_add_f64 v[28:29], v[38:39], v[28:29]
	v_mul_f64 v[38:39], v[214:215], s[56:57]
	v_mul_f64 v[32:33], v[16:17], s[34:35]
	v_fma_f64 v[216:217], v[200:201], s[36:37], v[50:51]
	v_add_f64 v[24:25], v[54:55], v[24:25]
	v_fma_f64 v[54:55], v[249:250], s[18:19], -v[48:49]
	v_add_f64 v[22:23], v[26:27], v[22:23]
	v_fma_f64 v[2:3], v[231:232], s[38:39], v[2:3]
	v_add_f64 v[28:29], v[52:53], v[28:29]
	v_mul_f64 v[52:53], v[14:15], s[34:35]
	v_fma_f64 v[26:27], v[198:199], s[36:37], -v[38:39]
	v_add_f64 v[4:5], v[136:137], v[4:5]
	v_fma_f64 v[0:1], v[239:240], s[28:29], -v[0:1]
	v_add_f64 v[24:25], v[54:55], v[24:25]
	v_mul_f64 v[42:43], v[18:19], s[20:21]
	v_fma_f64 v[40:41], v[210:211], s[30:31], v[32:33]
	v_add_f64 v[28:29], v[216:217], v[28:29]
	v_mul_f64 v[54:55], v[20:21], s[20:21]
	v_fma_f64 v[216:217], v[208:209], s[30:31], -v[52:53]
	v_fma_f64 v[30:31], v[245:246], s[8:9], -v[30:31]
	v_add_f64 v[2:3], v[2:3], v[4:5]
	v_add_f64 v[0:1], v[0:1], v[22:23]
	;; [unrolled: 1-line block ×3, first 2 shown]
	v_fma_f64 v[36:37], v[237:238], s[28:29], v[36:37]
	v_fma_f64 v[22:23], v[10:11], s[10:11], v[42:43]
	v_add_f64 v[24:25], v[40:41], v[28:29]
	v_fma_f64 v[26:27], v[8:9], s[10:11], -v[54:55]
	v_fma_f64 v[28:29], v[251:252], s[18:19], -v[44:45]
	v_fma_f64 v[40:41], v[243:244], s[8:9], v[46:47]
	v_add_f64 v[0:1], v[30:31], v[0:1]
	v_add_f64 v[4:5], v[216:217], v[4:5]
	;; [unrolled: 1-line block ×4, first 2 shown]
	v_mul_f64 v[6:7], v[247:248], s[40:41]
	v_add_f64 v[30:31], v[22:23], v[24:25]
	v_fma_f64 v[22:23], v[200:201], s[36:37], -v[50:51]
	v_fma_f64 v[24:25], v[249:250], s[18:19], v[48:49]
	v_add_f64 v[0:1], v[28:29], v[0:1]
	v_add_f64 v[28:29], v[26:27], v[4:5]
	;; [unrolled: 1-line block ×3, first 2 shown]
	v_mul_f64 v[4:5], v[206:207], s[24:25]
	v_fma_f64 v[26:27], v[227:228], s[36:37], v[6:7]
	v_fma_f64 v[6:7], v[227:228], s[36:37], -v[6:7]
	buffer_store_dword v216, off, s[64:67], 0 offset:564 ; 4-byte Folded Spill
	s_nop 0
	buffer_store_dword v217, off, s[64:67], 0 offset:568 ; 4-byte Folded Spill
	buffer_store_dword v218, off, s[64:67], 0 offset:572 ; 4-byte Folded Spill
	buffer_store_dword v219, off, s[64:67], 0 offset:576 ; 4-byte Folded Spill
	buffer_store_dword v28, off, s[64:67], 0 offset:548 ; 4-byte Folded Spill
	s_nop 0
	buffer_store_dword v29, off, s[64:67], 0 offset:552 ; 4-byte Folded Spill
	buffer_store_dword v30, off, s[64:67], 0 offset:556 ; 4-byte Folded Spill
	;; [unrolled: 1-line block ×3, first 2 shown]
	v_fma_f64 v[28:29], v[210:211], s[30:31], -v[32:33]
	v_fma_f64 v[30:31], v[198:199], s[36:37], v[38:39]
	v_mul_f64 v[32:33], v[72:73], s[40:41]
	v_add_f64 v[2:3], v[24:25], v[2:3]
	v_add_f64 v[0:1], v[22:23], v[0:1]
	v_mul_f64 v[22:23], v[196:197], s[46:47]
	v_fma_f64 v[24:25], v[233:234], s[18:19], v[4:5]
	v_fma_f64 v[4:5], v[233:234], s[18:19], -v[4:5]
	v_add_f64 v[6:7], v[138:139], v[6:7]
	v_fma_f64 v[34:35], v[208:209], s[30:31], v[52:53]
	v_mul_f64 v[36:37], v[56:57], s[24:25]
	v_fma_f64 v[38:39], v[225:226], s[36:37], -v[32:33]
	v_add_f64 v[2:3], v[30:31], v[2:3]
	v_add_f64 v[0:1], v[28:29], v[0:1]
	v_mul_f64 v[28:29], v[229:230], s[50:51]
	v_fma_f64 v[30:31], v[239:240], s[22:23], v[22:23]
	v_fma_f64 v[22:23], v[239:240], s[22:23], -v[22:23]
	v_add_f64 v[4:5], v[4:5], v[6:7]
	v_fma_f64 v[40:41], v[231:232], s[18:19], -v[36:37]
	v_add_f64 v[38:39], v[136:137], v[38:39]
	v_add_f64 v[34:35], v[34:35], v[2:3]
	v_mul_f64 v[2:3], v[212:213], s[16:17]
	v_fma_f64 v[44:45], v[245:246], s[30:31], v[28:29]
	v_fma_f64 v[28:29], v[245:246], s[30:31], -v[28:29]
	v_mov_b32_e32 v60, v204
	v_add_f64 v[4:5], v[22:23], v[4:5]
	v_mov_b32_e32 v61, v205
	v_add_f64 v[38:39], v[40:41], v[38:39]
	v_mul_f64 v[40:41], v[12:13], s[42:43]
	v_fma_f64 v[48:49], v[251:252], s[8:9], v[2:3]
	v_fma_f64 v[2:3], v[251:252], s[8:9], -v[2:3]
	v_mov_b32_e32 v205, v203
	v_mov_b32_e32 v204, v202
	v_add_f64 v[4:5], v[28:29], v[4:5]
	v_mov_b32_e32 v203, v57
	v_mov_b32_e32 v202, v56
	buffer_store_dword v72, off, s[64:67], 0 offset:604 ; 4-byte Folded Spill
	s_nop 0
	buffer_store_dword v73, off, s[64:67], 0 offset:608 ; 4-byte Folded Spill
	buffer_store_dword v202, off, s[64:67], 0 offset:612 ; 4-byte Folded Spill
	s_nop 0
	buffer_store_dword v203, off, s[64:67], 0 offset:616 ; 4-byte Folded Spill
	v_fma_f64 v[6:7], v[200:201], s[38:39], v[40:41]
	v_fma_f64 v[32:33], v[225:226], s[36:37], v[32:33]
	;; [unrolled: 1-line block ×3, first 2 shown]
	v_add_f64 v[2:3], v[2:3], v[4:5]
	v_fma_f64 v[4:5], v[200:201], s[38:39], -v[40:41]
	buffer_load_dword v40, off, s[64:67], 0 offset:508 ; 4-byte Folded Reload
	buffer_load_dword v41, off, s[64:67], 0 offset:512 ; 4-byte Folded Reload
	;; [unrolled: 1-line block ×4, first 2 shown]
	v_add_f64 v[26:27], v[138:139], v[26:27]
	v_mul_f64 v[222:223], v[18:19], s[48:49]
	v_mul_f64 v[216:217], v[212:213], s[48:49]
	v_add_f64 v[32:33], v[136:137], v[32:33]
	v_mul_f64 v[52:53], v[243:244], s[22:23]
	v_mul_f64 v[28:29], v[231:232], s[10:11]
	v_add_f64 v[4:5], v[4:5], v[2:3]
	v_fma_f64 v[2:3], v[10:11], s[10:11], -v[42:43]
	buffer_load_dword v42, off, s[64:67], 0 offset:524 ; 4-byte Folded Reload
	buffer_load_dword v43, off, s[64:67], 0 offset:528 ; 4-byte Folded Reload
	v_add_f64 v[24:25], v[24:25], v[26:27]
	v_mul_f64 v[26:27], v[253:254], s[46:47]
	v_add_f64 v[32:33], v[36:37], v[32:33]
	v_mul_f64 v[36:37], v[206:207], s[20:21]
	;; [unrolled: 2-line block ×3, first 2 shown]
	v_add_f64 v[2:3], v[2:3], v[0:1]
	v_add_f64 v[24:25], v[30:31], v[24:25]
	v_mul_f64 v[30:31], v[241:242], s[50:51]
	v_fma_f64 v[46:47], v[237:238], s[22:23], -v[26:27]
	v_fma_f64 v[26:27], v[237:238], s[22:23], v[26:27]
	v_add_f64 v[24:25], v[44:45], v[24:25]
	v_fma_f64 v[50:51], v[243:244], s[30:31], -v[30:31]
	v_add_f64 v[38:39], v[46:47], v[38:39]
	v_mul_f64 v[46:47], v[235:236], s[16:17]
	v_mul_f64 v[44:45], v[16:17], s[58:59]
	v_add_f64 v[26:27], v[26:27], v[32:33]
	v_fma_f64 v[30:31], v[243:244], s[30:31], v[30:31]
	v_mul_f64 v[32:33], v[229:230], s[46:47]
	v_add_f64 v[24:25], v[48:49], v[24:25]
	v_mul_f64 v[48:49], v[214:215], s[42:43]
	v_add_f64 v[38:39], v[50:51], v[38:39]
	v_fma_f64 v[50:51], v[249:250], s[8:9], -v[46:47]
	v_fma_f64 v[22:23], v[210:211], s[10:11], v[44:45]
	v_fma_f64 v[46:47], v[249:250], s[8:9], v[46:47]
	v_add_f64 v[26:27], v[30:31], v[26:27]
	v_fma_f64 v[44:45], v[210:211], s[10:11], -v[44:45]
	v_add_f64 v[6:7], v[6:7], v[24:25]
	v_mul_f64 v[24:25], v[14:15], s[58:59]
	v_mul_f64 v[30:31], v[12:13], s[34:35]
	v_add_f64 v[38:39], v[50:51], v[38:39]
	v_fma_f64 v[50:51], v[198:199], s[38:39], -v[48:49]
	v_fma_f64 v[48:49], v[198:199], s[38:39], v[48:49]
	v_add_f64 v[26:27], v[46:47], v[26:27]
	v_fma_f64 v[46:47], v[10:11], s[28:29], v[222:223]
	v_add_f64 v[6:7], v[22:23], v[6:7]
	v_fma_f64 v[22:23], v[208:209], s[10:11], -v[24:25]
	v_add_f64 v[44:45], v[44:45], v[4:5]
	v_fma_f64 v[222:223], v[10:11], s[28:29], -v[222:223]
	v_add_f64 v[38:39], v[50:51], v[38:39]
	v_mul_f64 v[50:51], v[237:238], s[18:19]
	v_add_f64 v[26:27], v[48:49], v[26:27]
	v_mul_f64 v[48:49], v[206:207], s[40:41]
	;; [unrolled: 2-line block ×3, first 2 shown]
	s_waitcnt vmcnt(2)
	v_add_f64 v[40:41], v[40:41], -v[56:57]
	buffer_load_dword v56, off, s[64:67], 0 offset:340 ; 4-byte Folded Reload
	buffer_load_dword v57, off, s[64:67], 0 offset:344 ; 4-byte Folded Reload
	;; [unrolled: 1-line block ×4, first 2 shown]
	v_add_f64 v[40:41], v[138:139], v[40:41]
	s_waitcnt vmcnt(4)
	v_add_f64 v[36:37], v[42:43], -v[36:37]
	v_fma_f64 v[42:43], v[8:9], s[10:11], v[54:55]
	v_mul_f64 v[54:55], v[208:209], s[36:37]
	v_add_f64 v[36:37], v[36:37], v[40:41]
	v_add_f64 v[0:1], v[42:43], v[34:35]
	buffer_store_dword v0, off, s[64:67], 0 offset:508 ; 4-byte Folded Spill
	s_nop 0
	buffer_store_dword v1, off, s[64:67], 0 offset:512 ; 4-byte Folded Spill
	buffer_store_dword v2, off, s[64:67], 0 offset:516 ; 4-byte Folded Spill
	;; [unrolled: 1-line block ×3, first 2 shown]
	buffer_load_dword v0, off, s[64:67], 0 offset:348 ; 4-byte Folded Reload
	s_nop 0
	buffer_load_dword v1, off, s[64:67], 0 offset:352 ; 4-byte Folded Reload
	v_mul_f64 v[34:35], v[20:21], s[48:49]
	v_add_f64 v[2:3], v[46:47], v[6:7]
	buffer_store_dword v58, off, s[64:67], 0 offset:340 ; 4-byte Folded Spill
	buffer_store_dword v59, off, s[64:67], 0 offset:348 ; 4-byte Folded Spill
	v_mul_f64 v[42:43], v[16:17], s[40:41]
	v_fma_f64 v[58:59], v[208:209], s[10:11], v[24:25]
	v_add_f64 v[24:25], v[222:223], v[44:45]
	v_mul_f64 v[44:45], v[247:248], s[54:55]
	v_mul_f64 v[40:41], v[8:9], s[38:39]
	v_fma_f64 v[4:5], v[8:9], s[28:29], -v[34:35]
	v_fma_f64 v[34:35], v[8:9], s[28:29], v[34:35]
	v_add_f64 v[26:27], v[58:59], v[26:27]
	v_mul_f64 v[58:59], v[196:197], s[20:21]
	v_fma_f64 v[222:223], v[239:240], s[10:11], v[58:59]
	s_waitcnt vmcnt(8)
	v_add_f64 v[220:221], v[82:83], -v[56:57]
	v_mul_f64 v[56:57], v[18:19], s[42:43]
	v_add_f64 v[36:37], v[220:221], v[36:37]
	s_waitcnt vmcnt(2)
	v_add_f64 v[32:33], v[0:1], -v[32:33]
	v_add_f64 v[0:1], v[4:5], v[22:23]
	buffer_store_dword v0, off, s[64:67], 0 offset:492 ; 4-byte Folded Spill
	s_nop 0
	buffer_store_dword v1, off, s[64:67], 0 offset:496 ; 4-byte Folded Spill
	buffer_store_dword v2, off, s[64:67], 0 offset:500 ; 4-byte Folded Spill
	buffer_store_dword v3, off, s[64:67], 0 offset:504 ; 4-byte Folded Spill
	buffer_load_dword v0, off, s[64:67], 0 offset:596 ; 4-byte Folded Reload
	s_nop 0
	buffer_load_dword v1, off, s[64:67], 0 offset:600 ; 4-byte Folded Reload
	v_add_f64 v[32:33], v[32:33], v[36:37]
	v_mov_b32_e32 v4, v124
	v_mov_b32_e32 v5, v125
	;; [unrolled: 1-line block ×20, first 2 shown]
	s_waitcnt vmcnt(0)
	v_add_f64 v[22:23], v[0:1], -v[216:217]
	buffer_load_dword v0, off, s[64:67], 0 offset:484 ; 4-byte Folded Reload
	buffer_load_dword v1, off, s[64:67], 0 offset:488 ; 4-byte Folded Reload
	v_fma_f64 v[216:217], v[233:234], s[36:37], v[48:49]
	v_add_f64 v[22:23], v[22:23], v[32:33]
	s_waitcnt vmcnt(0)
	v_add_f64 v[36:37], v[0:1], -v[56:57]
	buffer_load_dword v0, off, s[64:67], 0 offset:436 ; 4-byte Folded Reload
	buffer_load_dword v1, off, s[64:67], 0 offset:440 ; 4-byte Folded Reload
	;; [unrolled: 1-line block ×4, first 2 shown]
	v_fma_f64 v[56:57], v[227:228], s[28:29], v[44:45]
	v_fma_f64 v[44:45], v[227:228], s[28:29], -v[44:45]
	v_add_f64 v[56:57], v[138:139], v[56:57]
	v_add_f64 v[56:57], v[216:217], v[56:57]
	;; [unrolled: 1-line block ×3, first 2 shown]
	s_waitcnt vmcnt(0)
	v_add_f64 v[46:47], v[2:3], v[0:1]
	buffer_load_dword v0, off, s[64:67], 0 offset:588 ; 4-byte Folded Reload
	buffer_load_dword v1, off, s[64:67], 0 offset:592 ; 4-byte Folded Reload
	v_add_f64 v[46:47], v[136:137], v[46:47]
	v_add_f64 v[28:29], v[28:29], v[46:47]
	v_mul_f64 v[46:47], v[229:230], s[24:25]
	s_waitcnt vmcnt(0)
	v_add_f64 v[30:31], v[0:1], -v[30:31]
	buffer_load_dword v0, off, s[64:67], 0 offset:476 ; 4-byte Folded Reload
	buffer_load_dword v1, off, s[64:67], 0 offset:480 ; 4-byte Folded Reload
	v_add_f64 v[22:23], v[30:31], v[22:23]
	v_add_f64 v[30:31], v[50:51], v[60:61]
	v_mul_f64 v[50:51], v[202:203], s[40:41]
	v_mov_b32_e32 v205, v131
	v_mov_b32_e32 v204, v130
	;; [unrolled: 1-line block ×21, first 2 shown]
	v_mul_f64 v[60:61], v[253:254], s[20:21]
	v_mov_b32_e32 v78, v64
	v_mov_b32_e32 v77, v63
	;; [unrolled: 1-line block ×3, first 2 shown]
	v_fma_f64 v[62:63], v[231:232], s[36:37], -v[50:51]
	v_mov_b32_e32 v83, v69
	v_mul_f64 v[64:65], v[241:242], s[24:25]
	v_mov_b32_e32 v82, v68
	v_mov_b32_e32 v81, v67
	;; [unrolled: 1-line block ×3, first 2 shown]
	v_fma_f64 v[66:67], v[237:238], s[10:11], -v[60:61]
	v_add_f64 v[28:29], v[30:31], v[28:29]
	v_mul_f64 v[30:31], v[212:213], s[60:61]
	v_mul_f64 v[68:69], v[214:215], s[46:47]
	v_fma_f64 v[222:223], v[243:244], s[18:19], -v[64:65]
	s_waitcnt vmcnt(0)
	v_add_f64 v[32:33], v[0:1], -v[42:43]
	buffer_load_dword v0, off, s[64:67], 0 offset:404 ; 4-byte Folded Reload
	buffer_load_dword v1, off, s[64:67], 0 offset:408 ; 4-byte Folded Reload
	v_mul_f64 v[42:43], v[72:73], s[54:55]
	v_mul_f64 v[72:73], v[18:19], s[50:51]
	v_mul_f64 v[18:19], v[18:19], s[24:25]
	v_add_f64 v[32:33], v[32:33], v[22:23]
	v_fma_f64 v[22:23], v[198:199], s[22:23], -v[68:69]
	v_fma_f64 v[220:221], v[225:226], s[28:29], -v[42:43]
	v_add_f64 v[216:217], v[136:137], v[220:221]
	v_fma_f64 v[220:221], v[245:246], s[18:19], v[46:47]
	v_fma_f64 v[46:47], v[245:246], s[18:19], -v[46:47]
	v_add_f64 v[62:63], v[62:63], v[216:217]
	v_add_f64 v[56:57], v[220:221], v[56:57]
	v_mul_f64 v[220:221], v[235:236], s[60:61]
	v_fma_f64 v[216:217], v[251:252], s[38:39], v[30:31]
	v_fma_f64 v[30:31], v[251:252], s[38:39], -v[30:31]
	v_add_f64 v[62:63], v[66:67], v[62:63]
	v_fma_f64 v[70:71], v[249:250], s[38:39], -v[220:221]
	v_add_f64 v[56:57], v[216:217], v[56:57]
	v_add_f64 v[62:63], v[222:223], v[62:63]
	;; [unrolled: 1-line block ×5, first 2 shown]
	v_fma_f64 v[26:27], v[233:234], s[36:37], -v[48:49]
	v_fma_f64 v[48:49], v[231:232], s[36:37], v[50:51]
	v_mul_f64 v[50:51], v[206:207], s[54:55]
	s_waitcnt vmcnt(0)
	v_add_f64 v[52:53], v[52:53], v[0:1]
	buffer_load_dword v0, off, s[64:67], 0 offset:428 ; 4-byte Folded Reload
	buffer_load_dword v1, off, s[64:67], 0 offset:432 ; 4-byte Folded Reload
	v_add_f64 v[28:29], v[52:53], v[28:29]
	v_mul_f64 v[52:53], v[12:13], s[46:47]
	v_fma_f64 v[66:67], v[200:201], s[22:23], v[52:53]
	v_add_f64 v[56:57], v[66:67], v[56:57]
	v_mul_f64 v[66:67], v[14:15], s[52:53]
	v_mul_f64 v[14:15], v[14:15], s[42:43]
	s_waitcnt vmcnt(0)
	v_add_f64 v[38:39], v[38:39], v[0:1]
	buffer_load_dword v0, off, s[64:67], 0 offset:420 ; 4-byte Folded Reload
	buffer_load_dword v1, off, s[64:67], 0 offset:424 ; 4-byte Folded Reload
	v_add_f64 v[28:29], v[38:39], v[28:29]
	v_mul_f64 v[38:39], v[16:17], s[52:53]
	v_mul_f64 v[16:17], v[16:17], s[42:43]
	v_fma_f64 v[74:75], v[210:211], s[8:9], v[38:39]
	v_fma_f64 v[38:39], v[210:211], s[8:9], -v[38:39]
	v_add_f64 v[56:57], v[74:75], v[56:57]
	v_fma_f64 v[74:75], v[208:209], s[8:9], -v[66:67]
	v_add_f64 v[34:35], v[74:75], v[62:63]
	s_waitcnt vmcnt(0)
	v_add_f64 v[218:219], v[218:219], v[0:1]
	buffer_load_dword v0, off, s[64:67], 0 offset:412 ; 4-byte Folded Reload
	buffer_load_dword v1, off, s[64:67], 0 offset:416 ; 4-byte Folded Reload
	;; [unrolled: 1-line block ×4, first 2 shown]
	v_add_f64 v[28:29], v[218:219], v[28:29]
	v_add_f64 v[218:219], v[36:37], v[32:33]
	v_fma_f64 v[36:37], v[10:11], s[30:31], -v[72:73]
	s_waitcnt vmcnt(2)
	v_add_f64 v[54:55], v[54:55], v[0:1]
	v_mov_b32_e32 v0, v120
	v_mov_b32_e32 v1, v121
	;; [unrolled: 1-line block ×16, first 2 shown]
	buffer_load_dword v0, off, s[64:67], 0 offset:604 ; 4-byte Folded Reload
	buffer_load_dword v1, off, s[64:67], 0 offset:608 ; 4-byte Folded Reload
	s_waitcnt vmcnt(2)
	v_add_f64 v[40:41], v[40:41], v[70:71]
	v_add_f64 v[28:29], v[54:55], v[28:29]
	v_fma_f64 v[54:55], v[10:11], s[30:31], v[72:73]
	v_mul_f64 v[70:71], v[20:21], s[50:51]
	v_mul_f64 v[20:21], v[20:21], s[24:25]
	v_add_f64 v[216:217], v[40:41], v[28:29]
	v_add_f64 v[28:29], v[138:139], v[44:45]
	v_fma_f64 v[40:41], v[225:226], s[28:29], v[42:43]
	v_fma_f64 v[42:43], v[239:240], s[10:11], -v[58:59]
	v_mul_f64 v[44:45], v[247:248], s[34:35]
	v_add_f64 v[222:223], v[54:55], v[56:57]
	v_add_f64 v[54:55], v[138:139], v[142:143]
	;; [unrolled: 1-line block ×3, first 2 shown]
	v_fma_f64 v[58:59], v[233:234], s[28:29], v[50:51]
	v_add_f64 v[26:27], v[26:27], v[28:29]
	v_fma_f64 v[28:29], v[200:201], s[22:23], -v[52:53]
	v_add_f64 v[40:41], v[136:137], v[40:41]
	v_fma_f64 v[52:53], v[227:228], s[30:31], v[44:45]
	v_fma_f64 v[44:45], v[227:228], s[30:31], -v[44:45]
	v_add_f64 v[54:55], v[54:55], v[146:147]
	v_add_f64 v[56:57], v[56:57], v[144:145]
	v_fma_f64 v[50:51], v[233:234], s[28:29], -v[50:51]
	v_add_f64 v[26:27], v[42:43], v[26:27]
	v_fma_f64 v[42:43], v[237:238], s[10:11], v[60:61]
	v_add_f64 v[40:41], v[48:49], v[40:41]
	v_mul_f64 v[48:49], v[196:197], s[16:17]
	v_add_f64 v[52:53], v[138:139], v[52:53]
	v_add_f64 v[54:55], v[54:55], v[150:151]
	;; [unrolled: 1-line block ×5, first 2 shown]
	v_fma_f64 v[46:47], v[243:244], s[18:19], v[64:65]
	v_add_f64 v[40:41], v[42:43], v[40:41]
	v_mul_f64 v[42:43], v[229:230], s[40:41]
	v_fma_f64 v[60:61], v[239:240], s[8:9], v[48:49]
	v_add_f64 v[52:53], v[58:59], v[52:53]
	v_add_f64 v[54:55], v[54:55], v[154:155]
	v_add_f64 v[56:57], v[56:57], v[152:153]
	v_add_f64 v[26:27], v[30:31], v[26:27]
	v_fma_f64 v[30:31], v[249:250], s[38:39], v[220:221]
	v_add_f64 v[40:41], v[46:47], v[40:41]
	v_mul_f64 v[46:47], v[212:213], s[44:45]
	v_fma_f64 v[58:59], v[245:246], s[36:37], v[42:43]
	v_add_f64 v[52:53], v[60:61], v[52:53]
	v_add_f64 v[54:55], v[54:55], v[158:159]
	v_add_f64 v[56:57], v[56:57], v[156:157]
	v_add_f64 v[26:27], v[28:29], v[26:27]
	v_fma_f64 v[28:29], v[198:199], s[22:23], v[68:69]
	v_add_f64 v[30:31], v[30:31], v[40:41]
	v_mul_f64 v[40:41], v[12:13], s[20:21]
	v_fma_f64 v[12:13], v[251:252], s[22:23], v[46:47]
	v_add_f64 v[52:53], v[58:59], v[52:53]
	v_mul_f64 v[60:61], v[241:242], s[40:41]
	v_fma_f64 v[48:49], v[239:240], s[8:9], -v[48:49]
	v_add_f64 v[26:27], v[38:39], v[26:27]
	v_fma_f64 v[38:39], v[208:209], s[8:9], v[66:67]
	v_add_f64 v[28:29], v[28:29], v[30:31]
	v_fma_f64 v[30:31], v[200:201], s[10:11], v[40:41]
	v_mul_f64 v[66:67], v[253:254], s[16:17]
	v_add_f64 v[52:53], v[12:13], v[52:53]
	v_add_f64 v[44:45], v[50:51], v[44:45]
	v_mul_f64 v[58:59], v[235:236], s[44:45]
	v_add_f64 v[12:13], v[36:37], v[26:27]
	v_add_f64 v[36:37], v[54:55], v[162:163]
	;; [unrolled: 1-line block ×3, first 2 shown]
	v_fma_f64 v[42:43], v[245:246], s[36:37], -v[42:43]
	v_fma_f64 v[50:51], v[237:238], s[8:9], v[66:67]
	v_add_f64 v[30:31], v[30:31], v[52:53]
	v_add_f64 v[44:45], v[48:49], v[44:45]
	v_fma_f64 v[48:49], v[243:244], s[36:37], v[60:61]
	v_fma_f64 v[66:67], v[237:238], s[8:9], -v[66:67]
	v_add_f64 v[36:37], v[36:37], v[166:167]
	v_add_f64 v[52:53], v[54:55], v[164:165]
	v_fma_f64 v[60:61], v[243:244], s[36:37], -v[60:61]
	v_mul_f64 v[56:57], v[214:215], s[20:21]
	s_waitcnt vmcnt(0)
	v_mul_f64 v[54:55], v[0:1], s[34:35]
	buffer_load_dword v0, off, s[64:67], 0 offset:612 ; 4-byte Folded Reload
	buffer_load_dword v1, off, s[64:67], 0 offset:616 ; 4-byte Folded Reload
	v_add_f64 v[42:43], v[42:43], v[44:45]
	v_fma_f64 v[44:45], v[249:250], s[22:23], v[58:59]
	v_add_f64 v[36:37], v[36:37], v[170:171]
	v_add_f64 v[52:53], v[52:53], v[168:169]
	v_fma_f64 v[46:47], v[251:252], s[22:23], -v[46:47]
	v_fma_f64 v[40:41], v[200:201], s[10:11], -v[40:41]
	v_fma_f64 v[64:65], v[225:226], s[30:31], v[54:55]
	v_fma_f64 v[54:55], v[225:226], s[30:31], -v[54:55]
	v_add_f64 v[28:29], v[38:39], v[28:29]
	v_fma_f64 v[38:39], v[210:211], s[38:39], v[16:17]
	v_add_f64 v[36:37], v[36:37], v[174:175]
	v_add_f64 v[52:53], v[52:53], v[172:173]
	;; [unrolled: 1-line block ×3, first 2 shown]
	v_fma_f64 v[46:47], v[198:199], s[10:11], v[56:57]
	v_add_f64 v[64:65], v[136:137], v[64:65]
	v_add_f64 v[54:55], v[136:137], v[54:55]
	v_fma_f64 v[16:17], v[210:211], s[38:39], -v[16:17]
	v_fma_f64 v[32:33], v[8:9], s[30:31], -v[70:71]
	v_add_f64 v[36:37], v[36:37], v[178:179]
	v_add_f64 v[52:53], v[52:53], v[176:177]
	;; [unrolled: 1-line block ×3, first 2 shown]
	v_fma_f64 v[42:43], v[208:209], s[38:39], v[14:15]
	v_fma_f64 v[14:15], v[208:209], s[38:39], -v[14:15]
	v_fma_f64 v[26:27], v[8:9], s[30:31], v[70:71]
	v_add_f64 v[30:31], v[38:39], v[30:31]
	v_add_f64 v[220:221], v[32:33], v[34:35]
	;; [unrolled: 1-line block ×5, first 2 shown]
	v_fma_f64 v[40:41], v[8:9], s[18:19], v[20:21]
	v_fma_f64 v[8:9], v[8:9], s[18:19], -v[20:21]
	v_add_f64 v[36:37], v[36:37], v[186:187]
	v_add_f64 v[52:53], v[52:53], v[184:185]
	;; [unrolled: 1-line block ×6, first 2 shown]
	s_waitcnt vmcnt(0)
	v_mul_f64 v[62:63], v[0:1], s[54:55]
	v_fma_f64 v[68:69], v[231:232], s[28:29], v[62:63]
	v_fma_f64 v[62:63], v[231:232], s[28:29], -v[62:63]
	v_add_f64 v[64:65], v[68:69], v[64:65]
	v_add_f64 v[54:55], v[62:63], v[54:55]
	;; [unrolled: 1-line block ×4, first 2 shown]
	v_mov_b32_e32 v62, v76
	v_mov_b32_e32 v66, v80
	;; [unrolled: 1-line block ×6, first 2 shown]
	v_add_f64 v[48:49], v[48:49], v[50:51]
	v_fma_f64 v[50:51], v[249:250], s[22:23], -v[58:59]
	buffer_load_dword v59, off, s[64:67], 0 offset:348 ; 4-byte Folded Reload
	buffer_load_dword v58, off, s[64:67], 0 offset:340 ; 4-byte Folded Reload
	;; [unrolled: 1-line block ×6, first 2 shown]
	v_add_f64 v[54:55], v[60:61], v[54:55]
	v_mov_b32_e32 v67, v81
	v_mov_b32_e32 v68, v82
	v_mov_b32_e32 v69, v83
	v_add_f64 v[44:45], v[44:45], v[48:49]
	v_fma_f64 v[48:49], v[198:199], s[10:11], -v[56:57]
	v_mov_b32_e32 v78, v92
	v_mov_b32_e32 v75, v89
	v_add_f64 v[50:51], v[50:51], v[54:55]
	v_mov_b32_e32 v76, v90
	v_mov_b32_e32 v77, v91
	;; [unrolled: 1-line block ×3, first 2 shown]
	v_add_f64 v[44:45], v[46:47], v[44:45]
	v_mov_b32_e32 v79, v93
	v_mov_b32_e32 v80, v94
	;; [unrolled: 1-line block ×3, first 2 shown]
	v_add_f64 v[46:47], v[48:49], v[50:51]
	v_fma_f64 v[48:49], v[10:11], s[18:19], -v[18:19]
	v_mov_b32_e32 v92, v104
	v_mov_b32_e32 v89, v101
	v_add_f64 v[42:43], v[42:43], v[44:45]
	v_fma_f64 v[44:45], v[10:11], s[18:19], v[18:19]
	v_add_f64 v[10:11], v[26:27], v[28:29]
	v_mov_b32_e32 v90, v102
	v_add_f64 v[38:39], v[14:15], v[46:47]
	v_add_f64 v[16:17], v[48:49], v[16:17]
	v_mov_b32_e32 v91, v103
	v_mov_b32_e32 v100, v112
	v_add_f64 v[14:15], v[40:41], v[42:43]
	v_add_f64 v[134:135], v[44:45], v[30:31]
	v_mov_b32_e32 v93, v105
	v_mov_b32_e32 v94, v106
	v_add_f64 v[132:133], v[8:9], v[38:39]
	v_mov_b32_e32 v95, v107
	v_mov_b32_e32 v104, v116
	;; [unrolled: 1-line block ×24, first 2 shown]
	s_waitcnt vmcnt(0)
	v_add_f64 v[36:37], v[36:37], v[2:3]
	v_add_f64 v[50:51], v[52:53], v[0:1]
	buffer_load_dword v0, off, s[64:67], 0 offset:4 ; 4-byte Folded Reload
	buffer_load_dword v1, off, s[64:67], 0 offset:8 ; 4-byte Folded Reload
	;; [unrolled: 1-line block ×4, first 2 shown]
	buffer_load_dword v8, off, s[64:67], 0  ; 4-byte Folded Reload
	buffer_load_dword v9, off, s[64:67], 0 offset:36 ; 4-byte Folded Reload
	s_waitcnt vmcnt(2)
	v_add_f64 v[20:21], v[36:37], v[2:3]
	v_add_f64 v[18:19], v[50:51], v[0:1]
	s_waitcnt vmcnt(1)
	v_mul_lo_u16_e32 v8, 17, v8
	s_waitcnt vmcnt(0)
	v_lshl_add_u32 v8, v8, 4, v9
	ds_write_b128 v8, v[18:21]
	ds_write_b128 v8, v[14:17] offset:16
	ds_write_b128 v8, v[10:13] offset:32
	ds_write_b128 v8, v[216:219] offset:48
	buffer_load_dword v217, off, s[64:67], 0 offset:312 ; 4-byte Folded Reload
	buffer_load_dword v216, off, s[64:67], 0 offset:308 ; 4-byte Folded Reload
	ds_write_b128 v8, v[22:25] offset:64
	buffer_load_dword v0, off, s[64:67], 0 offset:508 ; 4-byte Folded Reload
	buffer_load_dword v1, off, s[64:67], 0 offset:512 ; 4-byte Folded Reload
	buffer_load_dword v2, off, s[64:67], 0 offset:516 ; 4-byte Folded Reload
	buffer_load_dword v3, off, s[64:67], 0 offset:520 ; 4-byte Folded Reload
	s_waitcnt vmcnt(0)
	ds_write_b128 v8, v[0:3] offset:80
	buffer_load_dword v0, off, s[64:67], 0 offset:564 ; 4-byte Folded Reload
	buffer_load_dword v1, off, s[64:67], 0 offset:568 ; 4-byte Folded Reload
	buffer_load_dword v2, off, s[64:67], 0 offset:572 ; 4-byte Folded Reload
	buffer_load_dword v3, off, s[64:67], 0 offset:576 ; 4-byte Folded Reload
	s_waitcnt vmcnt(0)
	;; [unrolled: 6-line block ×9, first 2 shown]
	ds_write_b128 v8, v[0:3] offset:208
	ds_write_b128 v8, v[192:195] offset:224
	;; [unrolled: 1-line block ×3, first 2 shown]
	buffer_load_dword v223, off, s[64:67], 0 offset:336 ; 4-byte Folded Reload
	buffer_load_dword v222, off, s[64:67], 0 offset:332 ; 4-byte Folded Reload
	;; [unrolled: 1-line block ×6, first 2 shown]
	ds_write_b128 v8, v[132:135] offset:256
.LBB0_17:
	s_or_b64 exec, exec, s[26:27]
	s_waitcnt vmcnt(0) lgkmcnt(0)
	s_barrier
	ds_read_b128 v[0:3], v255 offset:9520
	ds_read_b128 v[4:7], v255
	ds_read_b128 v[8:11], v255 offset:1360
	ds_read_b128 v[12:15], v255 offset:10880
	;; [unrolled: 1-line block ×8, first 2 shown]
	buffer_load_dword v40, off, s[64:67], 0 offset:64 ; 4-byte Folded Reload
	buffer_load_dword v41, off, s[64:67], 0 offset:68 ; 4-byte Folded Reload
	;; [unrolled: 1-line block ×8, first 2 shown]
	ds_read_b128 v[144:147], v255 offset:5440
	ds_read_b128 v[148:151], v255 offset:6800
	;; [unrolled: 1-line block ×4, first 2 shown]
	buffer_load_dword v46, off, s[64:67], 0 offset:96 ; 4-byte Folded Reload
	buffer_load_dword v47, off, s[64:67], 0 offset:100 ; 4-byte Folded Reload
	;; [unrolled: 1-line block ×4, first 2 shown]
	s_waitcnt vmcnt(8) lgkmcnt(13)
	v_mul_f64 v[28:29], v[42:43], v[2:3]
	v_mul_f64 v[30:31], v[42:43], v[0:1]
	s_waitcnt vmcnt(4) lgkmcnt(10)
	v_mul_f64 v[32:33], v[38:39], v[14:15]
	v_mul_f64 v[34:35], v[38:39], v[12:13]
	v_fma_f64 v[0:1], v[40:41], v[0:1], v[28:29]
	v_fma_f64 v[2:3], v[40:41], v[2:3], -v[30:31]
	v_fma_f64 v[28:29], v[36:37], v[12:13], v[32:33]
	v_fma_f64 v[30:31], v[36:37], v[14:15], -v[34:35]
	s_waitcnt vmcnt(0) lgkmcnt(9)
	v_mul_f64 v[12:13], v[48:49], v[18:19]
	v_mul_f64 v[14:15], v[48:49], v[16:17]
	buffer_load_dword v48, off, s[64:67], 0 offset:80 ; 4-byte Folded Reload
	buffer_load_dword v49, off, s[64:67], 0 offset:84 ; 4-byte Folded Reload
	;; [unrolled: 1-line block ×4, first 2 shown]
	v_fma_f64 v[44:45], v[46:47], v[16:17], v[12:13]
	v_fma_f64 v[46:47], v[46:47], v[18:19], -v[14:15]
	v_add_f64 v[12:13], v[4:5], -v[0:1]
	v_add_f64 v[14:15], v[6:7], -v[2:3]
	;; [unrolled: 1-line block ×4, first 2 shown]
	v_fma_f64 v[8:9], v[8:9], 2.0, -v[16:17]
	v_fma_f64 v[10:11], v[10:11], 2.0, -v[18:19]
	s_waitcnt vmcnt(0) lgkmcnt(6)
	v_mul_f64 v[32:33], v[50:51], v[26:27]
	v_mul_f64 v[34:35], v[50:51], v[24:25]
	buffer_load_dword v50, off, s[64:67], 0 offset:128 ; 4-byte Folded Reload
	buffer_load_dword v51, off, s[64:67], 0 offset:132 ; 4-byte Folded Reload
	;; [unrolled: 1-line block ×8, first 2 shown]
	v_fma_f64 v[24:25], v[48:49], v[24:25], v[32:33]
	v_fma_f64 v[26:27], v[48:49], v[26:27], -v[34:35]
	v_add_f64 v[32:33], v[20:21], -v[44:45]
	v_add_f64 v[34:35], v[22:23], -v[46:47]
	v_fma_f64 v[20:21], v[20:21], 2.0, -v[32:33]
	v_fma_f64 v[22:23], v[22:23], 2.0, -v[34:35]
	s_waitcnt vmcnt(4) lgkmcnt(5)
	v_mul_f64 v[36:37], v[52:53], v[138:139]
	s_waitcnt vmcnt(0) lgkmcnt(1)
	v_mul_f64 v[40:41], v[56:57], v[154:155]
	v_mul_f64 v[42:43], v[56:57], v[152:153]
	;; [unrolled: 1-line block ×3, first 2 shown]
	v_fma_f64 v[48:49], v[50:51], v[136:137], v[36:37]
	v_fma_f64 v[52:53], v[54:55], v[152:153], v[40:41]
	v_fma_f64 v[54:55], v[54:55], v[154:155], -v[42:43]
	buffer_load_dword v40, off, s[64:67], 0 offset:112 ; 4-byte Folded Reload
	buffer_load_dword v41, off, s[64:67], 0 offset:116 ; 4-byte Folded Reload
	;; [unrolled: 1-line block ×4, first 2 shown]
	v_fma_f64 v[50:51], v[50:51], v[138:139], -v[38:39]
	s_waitcnt vmcnt(0) lgkmcnt(0)
	s_barrier
	v_add_f64 v[44:45], v[144:145], -v[48:49]
	v_add_f64 v[46:47], v[146:147], -v[50:51]
	v_mul_f64 v[36:37], v[42:43], v[158:159]
	v_mul_f64 v[38:39], v[42:43], v[156:157]
	v_add_f64 v[42:43], v[134:135], -v[26:27]
	v_fma_f64 v[0:1], v[40:41], v[156:157], v[36:37]
	v_fma_f64 v[2:3], v[40:41], v[158:159], -v[38:39]
	v_fma_f64 v[36:37], v[4:5], 2.0, -v[12:13]
	v_fma_f64 v[38:39], v[6:7], 2.0, -v[14:15]
	ds_write_b128 v222, v[36:39]
	ds_write_b128 v222, v[12:15] offset:272
	ds_write_b128 v223, v[8:11]
	ds_write_b128 v223, v[16:19] offset:272
	buffer_load_dword v8, off, s[64:67], 0 offset:160 ; 4-byte Folded Reload
	v_add_f64 v[40:41], v[132:133], -v[24:25]
	v_fma_f64 v[50:51], v[134:135], 2.0, -v[42:43]
	v_fma_f64 v[134:135], v[146:147], 2.0, -v[46:47]
	v_add_f64 v[4:5], v[148:149], -v[52:53]
	v_add_f64 v[6:7], v[150:151], -v[54:55]
	;; [unrolled: 1-line block ×4, first 2 shown]
	v_fma_f64 v[48:49], v[132:133], 2.0, -v[40:41]
	v_fma_f64 v[132:133], v[144:145], 2.0, -v[44:45]
	s_waitcnt vmcnt(0)
	ds_write_b128 v8, v[20:23]
	ds_write_b128 v8, v[32:35] offset:272
	ds_write_b128 v58, v[48:51]
	ds_write_b128 v58, v[40:43] offset:272
	;; [unrolled: 2-line block ×3, first 2 shown]
	buffer_load_dword v8, off, s[64:67], 0 offset:184 ; 4-byte Folded Reload
	v_fma_f64 v[0:1], v[148:149], 2.0, -v[4:5]
	v_fma_f64 v[2:3], v[150:151], 2.0, -v[6:7]
	;; [unrolled: 1-line block ×4, first 2 shown]
	s_waitcnt vmcnt(0)
	ds_write_b128 v8, v[0:3]
	ds_write_b128 v8, v[4:7] offset:272
	buffer_load_dword v8, off, s[64:67], 0 offset:192 ; 4-byte Folded Reload
	s_waitcnt vmcnt(0)
	ds_write_b128 v8, v[28:31]
	ds_write_b128 v8, v[24:27] offset:272
	s_waitcnt lgkmcnt(0)
	s_barrier
	ds_read_b128 v[36:39], v255
	ds_read_b128 v[32:35], v255 offset:1360
	ds_read_b128 v[140:143], v255 offset:3808
	;; [unrolled: 1-line block ×9, first 2 shown]
	s_and_saveexec_b64 s[8:9], s[2:3]
	s_cbranch_execz .LBB0_19
; %bb.18:
	ds_read_b128 v[0:3], v255 offset:2720
	ds_read_b128 v[4:7], v255 offset:6528
	;; [unrolled: 1-line block ×5, first 2 shown]
.LBB0_19:
	s_or_b64 exec, exec, s[8:9]
	buffer_load_dword v56, off, s[64:67], 0 offset:244 ; 4-byte Folded Reload
	buffer_load_dword v57, off, s[64:67], 0 offset:248 ; 4-byte Folded Reload
	;; [unrolled: 1-line block ×8, first 2 shown]
	s_waitcnt lgkmcnt(7)
	v_mul_f64 v[9:10], v[76:77], v[142:143]
	v_mul_f64 v[11:12], v[76:77], v[140:141]
	s_waitcnt lgkmcnt(3)
	v_mul_f64 v[17:18], v[68:69], v[150:151]
	s_waitcnt lgkmcnt(1)
	v_mul_f64 v[21:22], v[64:65], v[138:139]
	v_mul_f64 v[19:20], v[68:69], v[148:149]
	;; [unrolled: 1-line block ×3, first 2 shown]
	s_mov_b32 s8, 0x134454ff
	s_mov_b32 s9, 0xbfee6f0e
	v_fma_f64 v[52:53], v[74:75], v[140:141], v[9:10]
	v_mul_f64 v[9:10], v[64:65], v[136:137]
	v_fma_f64 v[54:55], v[74:75], v[142:143], -v[11:12]
	s_mov_b32 s21, 0x3fee6f0e
	v_fma_f64 v[19:20], v[66:67], v[150:151], -v[19:20]
	s_mov_b32 s20, s8
	s_mov_b32 s16, 0x4755a5e
	;; [unrolled: 1-line block ×3, first 2 shown]
	v_add_f64 v[60:61], v[36:37], v[52:53]
	s_mov_b32 s19, 0x3fe2cf23
	s_mov_b32 s18, s16
	;; [unrolled: 1-line block ×4, first 2 shown]
	v_add_u32_e32 v8, 0x550, v224
	s_waitcnt vmcnt(4)
	v_mul_f64 v[13:14], v[58:59], v[146:147]
	v_mul_f64 v[15:16], v[58:59], v[144:145]
	v_fma_f64 v[11:12], v[56:57], v[144:145], v[13:14]
	v_fma_f64 v[15:16], v[56:57], v[146:147], -v[15:16]
	v_fma_f64 v[56:57], v[66:67], v[148:149], v[17:18]
	s_waitcnt vmcnt(0)
	v_mul_f64 v[13:14], v[72:73], v[134:135]
	v_fma_f64 v[17:18], v[62:63], v[136:137], v[21:22]
	v_fma_f64 v[21:22], v[62:63], v[138:139], -v[9:10]
	v_mul_f64 v[9:10], v[72:73], v[132:133]
	buffer_load_dword v72, off, s[64:67], 0 offset:200 ; 4-byte Folded Reload
	buffer_load_dword v73, off, s[64:67], 0 offset:204 ; 4-byte Folded Reload
	;; [unrolled: 1-line block ×4, first 2 shown]
	v_add_f64 v[64:65], v[11:12], v[56:57]
	v_fma_f64 v[66:67], v[70:71], v[132:133], v[13:14]
	v_mul_f64 v[13:14], v[80:81], v[46:47]
	buffer_load_dword v80, off, s[64:67], 0 offset:168 ; 4-byte Folded Reload
	buffer_load_dword v81, off, s[64:67], 0 offset:172 ; 4-byte Folded Reload
	;; [unrolled: 1-line block ×4, first 2 shown]
	v_fma_f64 v[70:71], v[70:71], v[134:135], -v[9:10]
	v_add_f64 v[9:10], v[60:61], v[11:12]
	v_add_f64 v[60:61], v[54:55], -v[21:22]
	v_fma_f64 v[46:47], v[78:79], v[46:47], -v[68:69]
	v_add_f64 v[68:69], v[15:16], -v[19:20]
	v_add_f64 v[76:77], v[52:53], v[17:18]
	s_waitcnt vmcnt(0) lgkmcnt(0)
	s_barrier
	v_add_f64 v[9:10], v[9:10], v[56:57]
	v_add_f64 v[9:10], v[9:10], v[17:18]
	v_mul_f64 v[58:59], v[74:75], v[50:51]
	v_mul_f64 v[62:63], v[74:75], v[48:49]
	v_add_f64 v[74:75], v[17:18], -v[56:57]
	v_fma_f64 v[48:49], v[72:73], v[48:49], v[58:59]
	v_fma_f64 v[50:51], v[72:73], v[50:51], -v[62:63]
	v_fma_f64 v[58:59], v[64:65], -0.5, v[36:37]
	v_fma_f64 v[62:63], v[78:79], v[44:45], v[13:14]
	v_mul_f64 v[13:14], v[82:83], v[42:43]
	v_mul_f64 v[44:45], v[82:83], v[40:41]
	v_add_f64 v[72:73], v[52:53], -v[11:12]
	v_fma_f64 v[36:37], v[76:77], -0.5, v[36:37]
	v_fma_f64 v[64:65], v[60:61], s[8:9], v[58:59]
	v_fma_f64 v[78:79], v[80:81], v[40:41], v[13:14]
	v_fma_f64 v[80:81], v[80:81], v[42:43], -v[44:45]
	v_fma_f64 v[42:43], v[60:61], s[20:21], v[58:59]
	v_add_f64 v[44:45], v[38:39], v[54:55]
	v_add_f64 v[40:41], v[72:73], v[74:75]
	;; [unrolled: 1-line block ×3, first 2 shown]
	v_add_f64 v[72:73], v[11:12], -v[52:53]
	v_add_f64 v[74:75], v[56:57], -v[17:18]
	;; [unrolled: 1-line block ×3, first 2 shown]
	v_fma_f64 v[13:14], v[68:69], s[16:17], v[64:65]
	v_fma_f64 v[42:43], v[68:69], s[18:19], v[42:43]
	v_add_f64 v[44:45], v[44:45], v[15:16]
	v_fma_f64 v[64:65], v[68:69], s[20:21], v[36:37]
	v_fma_f64 v[36:37], v[68:69], s[8:9], v[36:37]
	v_fma_f64 v[58:59], v[58:59], -0.5, v[38:39]
	v_add_f64 v[56:57], v[11:12], -v[56:57]
	v_add_f64 v[68:69], v[72:73], v[74:75]
	v_fma_f64 v[13:14], v[40:41], s[10:11], v[13:14]
	v_fma_f64 v[17:18], v[40:41], s[10:11], v[42:43]
	v_add_f64 v[42:43], v[44:45], v[19:20]
	v_add_f64 v[44:45], v[54:55], v[21:22]
	v_fma_f64 v[64:65], v[60:61], s[16:17], v[64:65]
	v_fma_f64 v[40:41], v[60:61], s[18:19], v[36:37]
	;; [unrolled: 1-line block ×3, first 2 shown]
	v_add_f64 v[72:73], v[54:55], -v[15:16]
	v_add_f64 v[74:75], v[21:22], -v[19:20]
	;; [unrolled: 1-line block ×3, first 2 shown]
	v_add_f64 v[11:12], v[42:43], v[21:22]
	v_fma_f64 v[38:39], v[44:45], -0.5, v[38:39]
	v_add_f64 v[44:45], v[32:33], v[66:67]
	v_add_f64 v[19:20], v[19:20], -v[21:22]
	v_fma_f64 v[36:37], v[68:69], s[10:11], v[64:65]
	v_add_f64 v[64:65], v[48:49], v[62:63]
	v_fma_f64 v[40:41], v[68:69], s[10:11], v[40:41]
	v_fma_f64 v[42:43], v[56:57], s[18:19], v[60:61]
	v_add_f64 v[68:69], v[72:73], v[74:75]
	v_fma_f64 v[21:22], v[56:57], s[20:21], v[38:39]
	v_fma_f64 v[58:59], v[52:53], s[8:9], v[58:59]
	v_fma_f64 v[72:73], v[56:57], s[8:9], v[38:39]
	v_add_f64 v[38:39], v[44:45], v[48:49]
	v_add_f64 v[82:83], v[15:16], v[19:20]
	v_fma_f64 v[60:61], v[64:65], -0.5, v[32:33]
	v_add_f64 v[64:65], v[70:71], -v[80:81]
	v_add_f64 v[74:75], v[66:67], -v[48:49]
	v_fma_f64 v[21:22], v[52:53], s[16:17], v[21:22]
	v_add_f64 v[76:77], v[78:79], -v[62:63]
	v_fma_f64 v[56:57], v[56:57], s[16:17], v[58:59]
	v_add_f64 v[58:59], v[66:67], v[78:79]
	v_fma_f64 v[72:73], v[52:53], s[18:19], v[72:73]
	v_add_f64 v[52:53], v[38:39], v[62:63]
	v_fma_f64 v[15:16], v[68:69], s[10:11], v[42:43]
	v_fma_f64 v[44:45], v[64:65], s[8:9], v[60:61]
	;; [unrolled: 1-line block ×3, first 2 shown]
	v_add_f64 v[21:22], v[50:51], v[46:47]
	v_add_f64 v[54:55], v[50:51], -v[46:47]
	v_add_f64 v[74:75], v[74:75], v[76:77]
	v_fma_f64 v[58:59], v[58:59], -0.5, v[32:33]
	v_fma_f64 v[19:20], v[68:69], s[10:11], v[56:57]
	v_fma_f64 v[38:39], v[82:83], s[10:11], v[72:73]
	v_add_f64 v[32:33], v[52:53], v[78:79]
	v_fma_f64 v[52:53], v[64:65], s[20:21], v[60:61]
	v_add_f64 v[60:61], v[48:49], -v[66:67]
	v_add_f64 v[68:69], v[70:71], v[80:81]
	v_add_f64 v[72:73], v[62:63], -v[78:79]
	v_add_f64 v[76:77], v[34:35], v[70:71]
	v_fma_f64 v[21:22], v[21:22], -0.5, v[34:35]
	v_add_f64 v[66:67], v[66:67], -v[78:79]
	v_fma_f64 v[44:45], v[54:55], s[16:17], v[44:45]
	v_fma_f64 v[56:57], v[54:55], s[20:21], v[58:59]
	;; [unrolled: 1-line block ×3, first 2 shown]
	v_add_f64 v[48:49], v[48:49], -v[62:63]
	v_fma_f64 v[34:35], v[68:69], -0.5, v[34:35]
	v_add_f64 v[60:61], v[60:61], v[72:73]
	v_fma_f64 v[54:55], v[54:55], s[8:9], v[58:59]
	v_add_f64 v[58:59], v[76:77], v[50:51]
	v_fma_f64 v[62:63], v[66:67], s[20:21], v[21:22]
	v_add_f64 v[68:69], v[70:71], -v[50:51]
	v_add_f64 v[72:73], v[80:81], -v[46:47]
	v_fma_f64 v[21:22], v[66:67], s[8:9], v[21:22]
	v_add_f64 v[50:51], v[50:51], -v[70:71]
	v_add_f64 v[70:71], v[46:47], -v[80:81]
	v_fma_f64 v[76:77], v[48:49], s[8:9], v[34:35]
	v_add_f64 v[46:47], v[58:59], v[46:47]
	v_fma_f64 v[58:59], v[48:49], s[18:19], v[62:63]
	v_fma_f64 v[34:35], v[48:49], s[20:21], v[34:35]
	v_add_f64 v[62:63], v[68:69], v[72:73]
	v_fma_f64 v[21:22], v[48:49], s[16:17], v[21:22]
	;; [unrolled: 3-line block ×3, first 2 shown]
	v_fma_f64 v[64:65], v[66:67], s[18:19], v[76:77]
	v_fma_f64 v[44:45], v[74:75], s[10:11], v[44:45]
	;; [unrolled: 1-line block ×3, first 2 shown]
	v_add_f64 v[34:35], v[46:47], v[80:81]
	v_fma_f64 v[50:51], v[62:63], s[10:11], v[21:22]
	buffer_load_dword v21, off, s[64:67], 0 offset:232 ; 4-byte Folded Reload
	v_fma_f64 v[46:47], v[62:63], s[10:11], v[58:59]
	v_fma_f64 v[48:49], v[74:75], s[10:11], v[52:53]
	;; [unrolled: 1-line block ×6, first 2 shown]
	s_waitcnt vmcnt(0)
	ds_write_b128 v21, v[9:12]
	ds_write_b128 v21, v[13:16] offset:544
	ds_write_b128 v21, v[36:39] offset:1088
	;; [unrolled: 1-line block ×4, first 2 shown]
	buffer_load_dword v9, off, s[64:67], 0 offset:240 ; 4-byte Folded Reload
	s_waitcnt vmcnt(0)
	ds_write_b128 v9, v[32:35]
	ds_write_b128 v9, v[44:47] offset:544
	ds_write_b128 v9, v[52:55] offset:1088
	;; [unrolled: 1-line block ×4, first 2 shown]
	s_and_saveexec_b64 s[22:23], s[2:3]
	s_cbranch_execz .LBB0_21
; %bb.20:
	buffer_load_dword v42, off, s[64:67], 0 offset:292 ; 4-byte Folded Reload
	buffer_load_dword v43, off, s[64:67], 0 offset:296 ; 4-byte Folded Reload
	buffer_load_dword v44, off, s[64:67], 0 offset:300 ; 4-byte Folded Reload
	buffer_load_dword v45, off, s[64:67], 0 offset:304 ; 4-byte Folded Reload
	buffer_load_dword v34, off, s[64:67], 0 offset:260 ; 4-byte Folded Reload
	buffer_load_dword v35, off, s[64:67], 0 offset:264 ; 4-byte Folded Reload
	buffer_load_dword v36, off, s[64:67], 0 offset:268 ; 4-byte Folded Reload
	buffer_load_dword v37, off, s[64:67], 0 offset:272 ; 4-byte Folded Reload
	buffer_load_dword v38, off, s[64:67], 0 offset:276 ; 4-byte Folded Reload
	buffer_load_dword v39, off, s[64:67], 0 offset:280 ; 4-byte Folded Reload
	buffer_load_dword v40, off, s[64:67], 0 offset:284 ; 4-byte Folded Reload
	buffer_load_dword v41, off, s[64:67], 0 offset:288 ; 4-byte Folded Reload
	v_mul_f64 v[11:12], v[220:221], v[4:5]
	v_mul_f64 v[21:22], v[220:221], v[6:7]
	v_fma_f64 v[6:7], v[218:219], v[6:7], -v[11:12]
	v_fma_f64 v[4:5], v[218:219], v[4:5], v[21:22]
	v_add_f64 v[49:50], v[0:1], v[4:5]
	s_waitcnt vmcnt(8)
	v_mul_f64 v[9:10], v[44:45], v[28:29]
	s_waitcnt vmcnt(4)
	v_mul_f64 v[13:14], v[36:37], v[192:193]
	;; [unrolled: 2-line block ×3, first 2 shown]
	v_mul_f64 v[17:18], v[44:45], v[30:31]
	v_mul_f64 v[19:20], v[40:41], v[26:27]
	v_mul_f64 v[32:33], v[36:37], v[194:195]
	v_fma_f64 v[9:10], v[42:43], v[30:31], -v[9:10]
	v_fma_f64 v[13:14], v[34:35], v[194:195], -v[13:14]
	;; [unrolled: 1-line block ×3, first 2 shown]
	v_fma_f64 v[15:16], v[42:43], v[28:29], v[17:18]
	v_fma_f64 v[17:18], v[38:39], v[24:25], v[19:20]
	;; [unrolled: 1-line block ×3, first 2 shown]
	v_add_f64 v[37:38], v[2:3], v[6:7]
	v_add_f64 v[23:24], v[9:10], -v[6:7]
	v_add_f64 v[19:20], v[6:7], v[13:14]
	v_add_f64 v[31:32], v[9:10], v[11:12]
	v_add_f64 v[25:26], v[11:12], -v[13:14]
	v_add_f64 v[27:28], v[15:16], -v[17:18]
	v_add_f64 v[29:30], v[4:5], -v[21:22]
	v_add_f64 v[33:34], v[6:7], -v[9:10]
	v_add_f64 v[35:36], v[13:14], -v[11:12]
	v_add_f64 v[43:44], v[6:7], -v[13:14]
	v_fma_f64 v[19:20], v[19:20], -0.5, v[2:3]
	v_fma_f64 v[2:3], v[31:32], -0.5, v[2:3]
	v_add_f64 v[6:7], v[4:5], v[21:22]
	v_add_f64 v[23:24], v[23:24], v[25:26]
	v_add_f64 v[39:40], v[15:16], -v[4:5]
	v_add_f64 v[47:48], v[15:16], v[17:18]
	v_add_f64 v[4:5], v[4:5], -v[15:16]
	v_add_f64 v[15:16], v[49:50], v[15:16]
	v_fma_f64 v[31:32], v[27:28], s[20:21], v[19:20]
	v_fma_f64 v[19:20], v[27:28], s[8:9], v[19:20]
	v_fma_f64 v[25:26], v[29:30], s[8:9], v[2:3]
	v_fma_f64 v[2:3], v[29:30], s[20:21], v[2:3]
	v_add_f64 v[45:46], v[9:10], -v[11:12]
	v_add_f64 v[9:10], v[37:38], v[9:10]
	v_add_f64 v[41:42], v[17:18], -v[21:22]
	v_fma_f64 v[31:32], v[29:30], s[16:17], v[31:32]
	v_fma_f64 v[19:20], v[29:30], s[18:19], v[19:20]
	v_add_f64 v[29:30], v[33:34], v[35:36]
	v_fma_f64 v[33:34], v[6:7], -0.5, v[0:1]
	v_fma_f64 v[0:1], v[47:48], -0.5, v[0:1]
	v_fma_f64 v[25:26], v[27:28], s[16:17], v[25:26]
	v_fma_f64 v[27:28], v[27:28], s[18:19], v[2:3]
	v_add_f64 v[9:10], v[9:10], v[11:12]
	v_fma_f64 v[2:3], v[23:24], s[10:11], v[31:32]
	v_fma_f64 v[6:7], v[23:24], s[10:11], v[19:20]
	v_add_f64 v[19:20], v[21:22], -v[17:18]
	v_fma_f64 v[31:32], v[45:46], s[20:21], v[33:34]
	v_fma_f64 v[23:24], v[43:44], s[8:9], v[0:1]
	;; [unrolled: 1-line block ×4, first 2 shown]
	v_add_f64 v[35:36], v[39:40], v[41:42]
	v_fma_f64 v[11:12], v[29:30], s[10:11], v[25:26]
	v_add_f64 v[37:38], v[4:5], v[19:20]
	v_add_f64 v[4:5], v[15:16], v[17:18]
	v_fma_f64 v[23:24], v[45:46], s[16:17], v[23:24]
	v_fma_f64 v[31:32], v[43:44], s[16:17], v[31:32]
	;; [unrolled: 1-line block ×4, first 2 shown]
	v_add_f64 v[19:20], v[9:10], v[13:14]
	v_fma_f64 v[15:16], v[29:30], s[10:11], v[27:28]
	v_add_f64 v[17:18], v[4:5], v[21:22]
	buffer_load_dword v22, off, s[64:67], 0 offset:36 ; 4-byte Folded Reload
	v_fma_f64 v[13:14], v[37:38], s[10:11], v[23:24]
	v_fma_f64 v[4:5], v[35:36], s[10:11], v[31:32]
	;; [unrolled: 1-line block ×4, first 2 shown]
	v_mul_u32_u24_e32 v21, 0xaa, v216
	v_add_u32_sdwa v21, v21, v217 dst_sel:DWORD dst_unused:UNUSED_PAD src0_sel:DWORD src1_sel:BYTE_0
	s_waitcnt vmcnt(0)
	v_lshl_add_u32 v21, v21, 4, v22
	ds_write_b128 v21, v[17:20]
	ds_write_b128 v21, v[13:16] offset:544
	ds_write_b128 v21, v[4:7] offset:1088
	;; [unrolled: 1-line block ×4, first 2 shown]
.LBB0_21:
	s_or_b64 exec, exec, s[22:23]
	s_waitcnt lgkmcnt(0)
	s_barrier
	ds_read_b128 v[0:3], v255
	ds_read_b128 v[4:7], v255 offset:1360
	ds_read_b128 v[9:12], v255 offset:2720
	ds_read_b128 v[13:16], v255 offset:4080
	ds_read_b128 v[17:20], v255 offset:5440
	ds_read_b128 v[21:24], v255 offset:6800
	ds_read_b128 v[25:28], v255 offset:8160
	ds_read_b128 v[29:32], v255 offset:9520
	ds_read_b128 v[33:36], v255 offset:10880
	ds_read_b128 v[37:40], v255 offset:12240
	ds_read_b128 v[41:44], v255 offset:13600
	ds_read_b128 v[45:48], v255 offset:14960
	s_waitcnt lgkmcnt(9)
	v_mul_f64 v[57:58], v[102:103], v[11:12]
	v_mul_f64 v[59:60], v[102:103], v[9:10]
	s_waitcnt lgkmcnt(7)
	v_mul_f64 v[61:62], v[94:95], v[19:20]
	v_mul_f64 v[63:64], v[94:95], v[17:18]
	;; [unrolled: 3-line block ×3, first 2 shown]
	ds_read_b128 v[49:52], v255 offset:16320
	ds_read_b128 v[53:56], v255 offset:17680
	v_mul_f64 v[69:70], v[126:127], v[15:16]
	v_fma_f64 v[9:10], v[100:101], v[9:10], v[57:58]
	v_fma_f64 v[11:12], v[100:101], v[11:12], -v[59:60]
	v_fma_f64 v[17:18], v[92:93], v[17:18], v[61:62]
	v_fma_f64 v[19:20], v[92:93], v[19:20], -v[63:64]
	v_fma_f64 v[25:26], v[88:89], v[25:26], v[65:66]
	v_fma_f64 v[27:28], v[88:89], v[27:28], -v[67:68]
	s_waitcnt lgkmcnt(5)
	v_mul_f64 v[57:58], v[86:87], v[35:36]
	v_mul_f64 v[59:60], v[86:87], v[33:34]
	s_waitcnt lgkmcnt(3)
	v_mul_f64 v[61:62], v[110:111], v[43:44]
	v_mul_f64 v[63:64], v[110:111], v[41:42]
	;; [unrolled: 3-line block ×3, first 2 shown]
	v_mul_f64 v[71:72], v[126:127], v[13:14]
	s_mov_b32 s8, 0x37e14327
	v_fma_f64 v[33:34], v[84:85], v[33:34], v[57:58]
	v_fma_f64 v[35:36], v[84:85], v[35:36], -v[59:60]
	v_fma_f64 v[41:42], v[108:109], v[41:42], v[61:62]
	v_fma_f64 v[43:44], v[108:109], v[43:44], -v[63:64]
	;; [unrolled: 2-line block ×4, first 2 shown]
	v_mul_f64 v[13:14], v[122:123], v[23:24]
	v_mul_f64 v[15:16], v[122:123], v[21:22]
	;; [unrolled: 1-line block ×8, first 2 shown]
	v_fma_f64 v[73:74], v[120:121], v[21:22], v[13:14]
	v_fma_f64 v[75:76], v[120:121], v[23:24], -v[15:16]
	v_add_f64 v[21:22], v[9:10], v[49:50]
	v_add_f64 v[23:24], v[11:12], v[51:52]
	v_add_f64 v[9:10], v[9:10], -v[49:50]
	v_add_f64 v[11:12], v[11:12], -v[51:52]
	v_add_f64 v[49:50], v[17:18], v[41:42]
	v_add_f64 v[51:52], v[19:20], v[43:44]
	v_add_f64 v[17:18], v[17:18], -v[41:42]
	v_add_f64 v[19:20], v[19:20], -v[43:44]
	;; [unrolled: 4-line block ×3, first 2 shown]
	v_add_f64 v[33:34], v[49:50], v[21:22]
	v_add_f64 v[35:36], v[51:52], v[23:24]
	v_fma_f64 v[29:30], v[116:117], v[29:30], v[61:62]
	v_fma_f64 v[31:32], v[116:117], v[31:32], -v[63:64]
	v_fma_f64 v[37:38], v[112:113], v[37:38], v[65:66]
	v_fma_f64 v[39:40], v[112:113], v[39:40], -v[67:68]
	v_fma_f64 v[45:46], v[128:129], v[45:46], v[69:70]
	v_fma_f64 v[47:48], v[128:129], v[47:48], -v[71:72]
	v_add_f64 v[61:62], v[49:50], -v[21:22]
	v_add_f64 v[63:64], v[51:52], -v[23:24]
	;; [unrolled: 1-line block ×6, first 2 shown]
	v_add_f64 v[65:66], v[25:26], v[17:18]
	v_add_f64 v[67:68], v[27:28], v[19:20]
	v_add_f64 v[69:70], v[25:26], -v[17:18]
	v_add_f64 v[71:72], v[27:28], -v[19:20]
	v_add_f64 v[33:34], v[41:42], v[33:34]
	v_add_f64 v[35:36], v[43:44], v[35:36]
	v_add_f64 v[17:18], v[17:18], -v[9:10]
	v_add_f64 v[19:20], v[19:20], -v[11:12]
	s_mov_b32 s2, 0x36b3c0b5
	s_mov_b32 s16, 0xe976ee23
	;; [unrolled: 1-line block ×7, first 2 shown]
	v_add_f64 v[25:26], v[9:10], -v[25:26]
	v_add_f64 v[27:28], v[11:12], -v[27:28]
	v_add_f64 v[9:10], v[65:66], v[9:10]
	v_add_f64 v[11:12], v[67:68], v[11:12]
	;; [unrolled: 1-line block ×4, first 2 shown]
	v_mul_f64 v[21:22], v[21:22], s[8:9]
	v_mul_f64 v[23:24], v[23:24], s[8:9]
	;; [unrolled: 1-line block ×8, first 2 shown]
	s_mov_b32 s18, 0xaaaaaaaa
	s_mov_b32 s20, 0x5476071b
	;; [unrolled: 1-line block ×10, first 2 shown]
	s_waitcnt lgkmcnt(0)
	v_mul_f64 v[13:14], v[98:99], v[55:56]
	v_mul_f64 v[15:16], v[98:99], v[53:54]
	v_fma_f64 v[33:34], v[33:34], s[18:19], v[0:1]
	v_fma_f64 v[35:36], v[35:36], s[18:19], v[2:3]
	;; [unrolled: 1-line block ×4, first 2 shown]
	v_fma_f64 v[41:42], v[61:62], s[20:21], -v[41:42]
	v_fma_f64 v[43:44], v[63:64], s[20:21], -v[43:44]
	;; [unrolled: 1-line block ×4, first 2 shown]
	v_fma_f64 v[61:62], v[25:26], s[24:25], v[65:66]
	v_fma_f64 v[63:64], v[27:28], s[24:25], v[67:68]
	v_fma_f64 v[17:18], v[17:18], s[10:11], -v[65:66]
	v_fma_f64 v[19:20], v[19:20], s[10:11], -v[67:68]
	;; [unrolled: 1-line block ×4, first 2 shown]
	s_mov_b32 s26, 0x37c3f68c
	s_mov_b32 s27, 0xbfdc38aa
	v_add_f64 v[49:50], v[49:50], v[33:34]
	v_add_f64 v[51:52], v[51:52], v[35:36]
	;; [unrolled: 1-line block ×6, first 2 shown]
	v_fma_f64 v[27:28], v[11:12], s[26:27], v[27:28]
	v_fma_f64 v[65:66], v[9:10], s[26:27], v[25:26]
	;; [unrolled: 1-line block ×5, first 2 shown]
	v_fma_f64 v[55:56], v[96:97], v[55:56], -v[15:16]
	v_fma_f64 v[63:64], v[11:12], s[26:27], v[63:64]
	v_fma_f64 v[61:62], v[9:10], s[26:27], v[61:62]
	v_add_f64 v[13:14], v[27:28], v[33:34]
	v_add_f64 v[15:16], v[35:36], -v[65:66]
	v_add_f64 v[17:18], v[41:42], -v[21:22]
	v_add_f64 v[19:20], v[23:24], v[43:44]
	v_add_f64 v[21:22], v[21:22], v[41:42]
	v_add_f64 v[23:24], v[43:44], -v[23:24]
	v_add_f64 v[25:26], v[33:34], -v[27:28]
	v_add_f64 v[27:28], v[65:66], v[35:36]
	v_add_f64 v[33:34], v[57:58], v[53:54]
	;; [unrolled: 1-line block ×3, first 2 shown]
	v_add_f64 v[41:42], v[57:58], -v[53:54]
	v_add_f64 v[43:44], v[59:60], -v[55:56]
	v_add_f64 v[53:54], v[73:74], v[45:46]
	v_add_f64 v[55:56], v[75:76], v[47:48]
	v_add_f64 v[45:46], v[73:74], -v[45:46]
	v_add_f64 v[47:48], v[75:76], -v[47:48]
	v_add_f64 v[57:58], v[29:30], v[37:38]
	v_add_f64 v[59:60], v[31:32], v[39:40]
	;; [unrolled: 4-line block ×3, first 2 shown]
	v_add_f64 v[65:66], v[53:54], -v[33:34]
	v_add_f64 v[67:68], v[55:56], -v[35:36]
	;; [unrolled: 1-line block ×6, first 2 shown]
	v_add_f64 v[69:70], v[29:30], v[45:46]
	v_add_f64 v[71:72], v[31:32], v[47:48]
	v_add_f64 v[73:74], v[29:30], -v[45:46]
	v_add_f64 v[75:76], v[31:32], -v[47:48]
	v_add_f64 v[37:38], v[57:58], v[37:38]
	v_add_f64 v[39:40], v[59:60], v[39:40]
	v_add_f64 v[45:46], v[45:46], -v[41:42]
	v_add_f64 v[47:48], v[47:48], -v[43:44]
	;; [unrolled: 1-line block ×4, first 2 shown]
	v_add_f64 v[41:42], v[69:70], v[41:42]
	v_add_f64 v[43:44], v[71:72], v[43:44]
	;; [unrolled: 1-line block ×4, first 2 shown]
	v_mul_f64 v[33:34], v[33:34], s[8:9]
	v_mul_f64 v[35:36], v[35:36], s[8:9]
	;; [unrolled: 1-line block ×8, first 2 shown]
	v_fma_f64 v[37:38], v[37:38], s[18:19], v[4:5]
	v_fma_f64 v[39:40], v[39:40], s[18:19], v[6:7]
	;; [unrolled: 1-line block ×4, first 2 shown]
	v_fma_f64 v[57:58], v[65:66], s[20:21], -v[57:58]
	v_fma_f64 v[59:60], v[67:68], s[20:21], -v[59:60]
	;; [unrolled: 1-line block ×4, first 2 shown]
	v_fma_f64 v[65:66], v[29:30], s[24:25], v[69:70]
	v_fma_f64 v[67:68], v[31:32], s[24:25], v[71:72]
	v_fma_f64 v[45:46], v[45:46], s[10:11], -v[69:70]
	v_fma_f64 v[47:48], v[47:48], s[10:11], -v[71:72]
	;; [unrolled: 1-line block ×4, first 2 shown]
	v_add_f64 v[53:54], v[53:54], v[37:38]
	v_add_f64 v[55:56], v[55:56], v[39:40]
	;; [unrolled: 1-line block ×6, first 2 shown]
	v_fma_f64 v[67:68], v[43:44], s[26:27], v[67:68]
	v_fma_f64 v[65:66], v[41:42], s[26:27], v[65:66]
	;; [unrolled: 1-line block ×6, first 2 shown]
	v_add_f64 v[9:10], v[63:64], v[49:50]
	v_add_f64 v[11:12], v[51:52], -v[61:62]
	v_add_f64 v[29:30], v[49:50], -v[63:64]
	v_add_f64 v[31:32], v[61:62], v[51:52]
	v_add_f64 v[33:34], v[67:68], v[53:54]
	v_add_f64 v[35:36], v[55:56], -v[65:66]
	v_add_f64 v[37:38], v[73:74], v[69:70]
	v_add_f64 v[39:40], v[71:72], -v[75:76]
	v_add_f64 v[41:42], v[57:58], -v[47:48]
	v_add_f64 v[43:44], v[77:78], v[59:60]
	v_add_f64 v[45:46], v[47:48], v[57:58]
	v_add_f64 v[47:48], v[59:60], -v[77:78]
	v_add_f64 v[49:50], v[69:70], -v[73:74]
	v_add_f64 v[51:52], v[75:76], v[71:72]
	v_add_f64 v[53:54], v[53:54], -v[67:68]
	v_add_f64 v[55:56], v[65:66], v[55:56]
	ds_write_b128 v224, v[0:3]
	ds_write_b128 v224, v[9:12] offset:2720
	ds_write_b128 v224, v[13:16] offset:5440
	;; [unrolled: 1-line block ×13, first 2 shown]
	s_waitcnt lgkmcnt(0)
	s_barrier
	buffer_load_dword v18, off, s[64:67], 0 offset:40 ; 4-byte Folded Reload
	buffer_load_dword v19, off, s[64:67], 0 offset:44 ; 4-byte Folded Reload
	s_and_b64 s[0:1], exec, s[0:1]
	s_mov_b64 exec, s[0:1]
	s_cbranch_execz .LBB0_23
; %bb.22:
	buffer_load_dword v20, off, s[64:67], 0 ; 4-byte Folded Reload
	ds_read_b128 v[4:7], v224
	ds_read_b128 v[8:11], v224 offset:1120
	s_waitcnt vmcnt(2)
	v_mad_u64_u32 v[12:13], s[0:1], s6, v18, 0
	s_mul_i32 s3, s5, 0x460
	s_mul_i32 s2, s4, 0x460
	s_waitcnt vmcnt(0)
	v_lshlrev_b32_e32 v21, 4, v20
	global_load_dwordx4 v[0:3], v21, s[12:13]
	v_mad_u64_u32 v[14:15], s[0:1], s4, v20, 0
	v_mad_u64_u32 v[18:19], s[0:1], s7, v18, v[13:14]
	v_mov_b32_e32 v13, v18
	s_waitcnt vmcnt(0) lgkmcnt(1)
	v_mul_f64 v[16:17], v[6:7], v[2:3]
	v_mul_f64 v[2:3], v[4:5], v[2:3]
	v_fma_f64 v[4:5], v[4:5], v[0:1], v[16:17]
	v_fma_f64 v[2:3], v[0:1], v[6:7], -v[2:3]
	v_mad_u64_u32 v[19:20], s[0:1], s5, v20, v[15:16]
	s_mov_b32 s0, 0x1b89401c
	s_mov_b32 s1, 0x3f4b8940
	v_lshlrev_b64 v[6:7], 4, v[12:13]
	v_mov_b32_e32 v15, v19
	v_mul_f64 v[0:1], v[4:5], s[0:1]
	v_mul_f64 v[2:3], v[2:3], s[0:1]
	v_mov_b32_e32 v16, s15
	v_lshlrev_b64 v[12:13], 4, v[14:15]
	v_add_co_u32_e32 v4, vcc, s14, v6
	v_addc_co_u32_e32 v5, vcc, v16, v7, vcc
	v_add_co_u32_e32 v4, vcc, v4, v12
	v_addc_co_u32_e32 v5, vcc, v5, v13, vcc
	global_store_dwordx4 v[4:5], v[0:3], off
	global_load_dwordx4 v[0:3], v21, s[12:13] offset:1120
	s_mul_hi_u32 s5, s4, 0x460
	s_add_i32 s3, s5, s3
	v_add_co_u32_e32 v12, vcc, s2, v4
	s_movk_i32 s4, 0x1000
	s_waitcnt vmcnt(0) lgkmcnt(0)
	v_mul_f64 v[6:7], v[10:11], v[2:3]
	v_mul_f64 v[2:3], v[8:9], v[2:3]
	v_fma_f64 v[6:7], v[8:9], v[0:1], v[6:7]
	v_fma_f64 v[2:3], v[0:1], v[10:11], -v[2:3]
	v_mul_f64 v[0:1], v[6:7], s[0:1]
	v_mul_f64 v[2:3], v[2:3], s[0:1]
	v_mov_b32_e32 v6, s3
	v_addc_co_u32_e32 v13, vcc, v5, v6, vcc
	global_store_dwordx4 v[12:13], v[0:3], off
	global_load_dwordx4 v[0:3], v21, s[12:13] offset:2240
	ds_read_b128 v[4:7], v224 offset:2240
	ds_read_b128 v[8:11], v224 offset:3360
	s_waitcnt vmcnt(0) lgkmcnt(1)
	v_mul_f64 v[14:15], v[6:7], v[2:3]
	v_mul_f64 v[2:3], v[4:5], v[2:3]
	v_fma_f64 v[4:5], v[4:5], v[0:1], v[14:15]
	v_fma_f64 v[2:3], v[0:1], v[6:7], -v[2:3]
	v_mul_f64 v[0:1], v[4:5], s[0:1]
	v_mul_f64 v[2:3], v[2:3], s[0:1]
	v_mov_b32_e32 v5, s3
	v_add_co_u32_e32 v4, vcc, s2, v12
	v_addc_co_u32_e32 v5, vcc, v13, v5, vcc
	v_mov_b32_e32 v12, s13
	v_add_co_u32_e32 v18, vcc, s12, v21
	global_store_dwordx4 v[4:5], v[0:3], off
	global_load_dwordx4 v[0:3], v21, s[12:13] offset:3360
	v_addc_co_u32_e32 v19, vcc, 0, v12, vcc
	v_add_co_u32_e32 v12, vcc, s4, v18
	v_addc_co_u32_e32 v13, vcc, 0, v19, vcc
	v_add_co_u32_e32 v14, vcc, s2, v4
	s_movk_i32 s4, 0x2000
	s_waitcnt vmcnt(0) lgkmcnt(0)
	v_mul_f64 v[6:7], v[10:11], v[2:3]
	v_mul_f64 v[2:3], v[8:9], v[2:3]
	v_fma_f64 v[6:7], v[8:9], v[0:1], v[6:7]
	v_fma_f64 v[2:3], v[0:1], v[10:11], -v[2:3]
	v_mov_b32_e32 v8, s3
	v_addc_co_u32_e32 v15, vcc, v5, v8, vcc
	v_mul_f64 v[0:1], v[6:7], s[0:1]
	v_mul_f64 v[2:3], v[2:3], s[0:1]
	global_store_dwordx4 v[14:15], v[0:3], off
	global_load_dwordx4 v[0:3], v[12:13], off offset:384
	ds_read_b128 v[4:7], v224 offset:4480
	ds_read_b128 v[8:11], v224 offset:5600
	s_waitcnt vmcnt(0) lgkmcnt(1)
	v_mul_f64 v[16:17], v[6:7], v[2:3]
	v_mul_f64 v[2:3], v[4:5], v[2:3]
	v_fma_f64 v[4:5], v[4:5], v[0:1], v[16:17]
	v_fma_f64 v[2:3], v[0:1], v[6:7], -v[2:3]
	v_mul_f64 v[0:1], v[4:5], s[0:1]
	v_mul_f64 v[2:3], v[2:3], s[0:1]
	v_mov_b32_e32 v5, s3
	v_add_co_u32_e32 v4, vcc, s2, v14
	v_addc_co_u32_e32 v5, vcc, v15, v5, vcc
	v_add_co_u32_e32 v14, vcc, s2, v4
	global_store_dwordx4 v[4:5], v[0:3], off
	global_load_dwordx4 v[0:3], v[12:13], off offset:1504
	s_waitcnt vmcnt(0) lgkmcnt(0)
	v_mul_f64 v[6:7], v[10:11], v[2:3]
	v_mul_f64 v[2:3], v[8:9], v[2:3]
	v_fma_f64 v[6:7], v[8:9], v[0:1], v[6:7]
	v_fma_f64 v[2:3], v[0:1], v[10:11], -v[2:3]
	v_mul_f64 v[0:1], v[6:7], s[0:1]
	v_mul_f64 v[2:3], v[2:3], s[0:1]
	v_mov_b32_e32 v6, s3
	v_addc_co_u32_e32 v15, vcc, v5, v6, vcc
	global_store_dwordx4 v[14:15], v[0:3], off
	global_load_dwordx4 v[0:3], v[12:13], off offset:2624
	ds_read_b128 v[4:7], v224 offset:6720
	ds_read_b128 v[8:11], v224 offset:7840
	s_waitcnt vmcnt(0) lgkmcnt(1)
	v_mul_f64 v[16:17], v[6:7], v[2:3]
	v_mul_f64 v[2:3], v[4:5], v[2:3]
	v_fma_f64 v[4:5], v[4:5], v[0:1], v[16:17]
	v_fma_f64 v[2:3], v[0:1], v[6:7], -v[2:3]
	v_mul_f64 v[0:1], v[4:5], s[0:1]
	v_mul_f64 v[2:3], v[2:3], s[0:1]
	v_mov_b32_e32 v5, s3
	v_add_co_u32_e32 v4, vcc, s2, v14
	v_addc_co_u32_e32 v5, vcc, v15, v5, vcc
	global_store_dwordx4 v[4:5], v[0:3], off
	global_load_dwordx4 v[0:3], v[12:13], off offset:3744
	v_add_co_u32_e32 v12, vcc, s4, v18
	v_addc_co_u32_e32 v13, vcc, 0, v19, vcc
	v_add_co_u32_e32 v14, vcc, s2, v4
	s_movk_i32 s4, 0x3000
	s_waitcnt vmcnt(0) lgkmcnt(0)
	v_mul_f64 v[6:7], v[10:11], v[2:3]
	v_mul_f64 v[2:3], v[8:9], v[2:3]
	v_fma_f64 v[6:7], v[8:9], v[0:1], v[6:7]
	v_fma_f64 v[2:3], v[0:1], v[10:11], -v[2:3]
	v_mov_b32_e32 v8, s3
	v_addc_co_u32_e32 v15, vcc, v5, v8, vcc
	v_mul_f64 v[0:1], v[6:7], s[0:1]
	v_mul_f64 v[2:3], v[2:3], s[0:1]
	global_store_dwordx4 v[14:15], v[0:3], off
	global_load_dwordx4 v[0:3], v[12:13], off offset:768
	ds_read_b128 v[4:7], v224 offset:8960
	ds_read_b128 v[8:11], v224 offset:10080
	s_waitcnt vmcnt(0) lgkmcnt(1)
	v_mul_f64 v[16:17], v[6:7], v[2:3]
	v_mul_f64 v[2:3], v[4:5], v[2:3]
	v_fma_f64 v[4:5], v[4:5], v[0:1], v[16:17]
	v_fma_f64 v[2:3], v[0:1], v[6:7], -v[2:3]
	v_mul_f64 v[0:1], v[4:5], s[0:1]
	v_mul_f64 v[2:3], v[2:3], s[0:1]
	v_mov_b32_e32 v5, s3
	v_add_co_u32_e32 v4, vcc, s2, v14
	v_addc_co_u32_e32 v5, vcc, v15, v5, vcc
	v_add_co_u32_e32 v14, vcc, s2, v4
	global_store_dwordx4 v[4:5], v[0:3], off
	global_load_dwordx4 v[0:3], v[12:13], off offset:1888
	s_waitcnt vmcnt(0) lgkmcnt(0)
	v_mul_f64 v[6:7], v[10:11], v[2:3]
	v_mul_f64 v[2:3], v[8:9], v[2:3]
	v_fma_f64 v[6:7], v[8:9], v[0:1], v[6:7]
	v_fma_f64 v[2:3], v[0:1], v[10:11], -v[2:3]
	v_mul_f64 v[0:1], v[6:7], s[0:1]
	v_mul_f64 v[2:3], v[2:3], s[0:1]
	v_mov_b32_e32 v6, s3
	v_addc_co_u32_e32 v15, vcc, v5, v6, vcc
	global_store_dwordx4 v[14:15], v[0:3], off
	global_load_dwordx4 v[0:3], v[12:13], off offset:3008
	ds_read_b128 v[4:7], v224 offset:11200
	ds_read_b128 v[8:11], v224 offset:12320
	s_waitcnt vmcnt(0) lgkmcnt(1)
	v_mul_f64 v[12:13], v[6:7], v[2:3]
	v_mul_f64 v[2:3], v[4:5], v[2:3]
	v_fma_f64 v[4:5], v[4:5], v[0:1], v[12:13]
	v_fma_f64 v[2:3], v[0:1], v[6:7], -v[2:3]
	v_add_co_u32_e32 v12, vcc, s4, v18
	v_addc_co_u32_e32 v13, vcc, 0, v19, vcc
	v_mov_b32_e32 v6, s3
	s_movk_i32 s4, 0x4000
	v_mul_f64 v[0:1], v[4:5], s[0:1]
	v_mul_f64 v[2:3], v[2:3], s[0:1]
	v_add_co_u32_e32 v4, vcc, s2, v14
	v_addc_co_u32_e32 v5, vcc, v15, v6, vcc
	v_add_co_u32_e32 v14, vcc, s2, v4
	global_store_dwordx4 v[4:5], v[0:3], off
	global_load_dwordx4 v[0:3], v[12:13], off offset:32
	s_waitcnt vmcnt(0) lgkmcnt(0)
	v_mul_f64 v[6:7], v[10:11], v[2:3]
	v_mul_f64 v[2:3], v[8:9], v[2:3]
	v_fma_f64 v[6:7], v[8:9], v[0:1], v[6:7]
	v_fma_f64 v[2:3], v[0:1], v[10:11], -v[2:3]
	v_mul_f64 v[0:1], v[6:7], s[0:1]
	v_mul_f64 v[2:3], v[2:3], s[0:1]
	v_mov_b32_e32 v6, s3
	v_addc_co_u32_e32 v15, vcc, v5, v6, vcc
	global_store_dwordx4 v[14:15], v[0:3], off
	global_load_dwordx4 v[0:3], v[12:13], off offset:1152
	ds_read_b128 v[4:7], v224 offset:13440
	ds_read_b128 v[8:11], v224 offset:14560
	s_waitcnt vmcnt(0) lgkmcnt(1)
	v_mul_f64 v[16:17], v[6:7], v[2:3]
	v_mul_f64 v[2:3], v[4:5], v[2:3]
	v_fma_f64 v[4:5], v[4:5], v[0:1], v[16:17]
	v_fma_f64 v[2:3], v[0:1], v[6:7], -v[2:3]
	v_mul_f64 v[0:1], v[4:5], s[0:1]
	v_mul_f64 v[2:3], v[2:3], s[0:1]
	v_mov_b32_e32 v5, s3
	v_add_co_u32_e32 v4, vcc, s2, v14
	v_addc_co_u32_e32 v5, vcc, v15, v5, vcc
	v_add_co_u32_e32 v14, vcc, s2, v4
	global_store_dwordx4 v[4:5], v[0:3], off
	global_load_dwordx4 v[0:3], v[12:13], off offset:2272
	s_waitcnt vmcnt(0) lgkmcnt(0)
	v_mul_f64 v[6:7], v[10:11], v[2:3]
	v_mul_f64 v[2:3], v[8:9], v[2:3]
	v_fma_f64 v[6:7], v[8:9], v[0:1], v[6:7]
	v_fma_f64 v[2:3], v[0:1], v[10:11], -v[2:3]
	v_mul_f64 v[0:1], v[6:7], s[0:1]
	v_mul_f64 v[2:3], v[2:3], s[0:1]
	v_mov_b32_e32 v6, s3
	v_addc_co_u32_e32 v15, vcc, v5, v6, vcc
	global_store_dwordx4 v[14:15], v[0:3], off
	global_load_dwordx4 v[0:3], v[12:13], off offset:3392
	ds_read_b128 v[4:7], v224 offset:15680
	ds_read_b128 v[8:11], v224 offset:16800
	s_waitcnt vmcnt(0) lgkmcnt(1)
	v_mul_f64 v[12:13], v[6:7], v[2:3]
	v_mul_f64 v[2:3], v[4:5], v[2:3]
	v_fma_f64 v[4:5], v[4:5], v[0:1], v[12:13]
	v_fma_f64 v[2:3], v[0:1], v[6:7], -v[2:3]
	v_mov_b32_e32 v7, s3
	v_mul_f64 v[0:1], v[4:5], s[0:1]
	v_mul_f64 v[2:3], v[2:3], s[0:1]
	v_add_co_u32_e32 v4, vcc, s4, v18
	v_addc_co_u32_e32 v5, vcc, 0, v19, vcc
	v_add_co_u32_e32 v6, vcc, s2, v14
	v_addc_co_u32_e32 v7, vcc, v15, v7, vcc
	global_store_dwordx4 v[6:7], v[0:3], off
	global_load_dwordx4 v[0:3], v[4:5], off offset:416
	s_waitcnt vmcnt(0) lgkmcnt(0)
	v_mul_f64 v[12:13], v[10:11], v[2:3]
	v_mul_f64 v[2:3], v[8:9], v[2:3]
	v_fma_f64 v[8:9], v[8:9], v[0:1], v[12:13]
	v_fma_f64 v[2:3], v[0:1], v[10:11], -v[2:3]
	v_mul_f64 v[0:1], v[8:9], s[0:1]
	v_mul_f64 v[2:3], v[2:3], s[0:1]
	v_mov_b32_e32 v9, s3
	v_add_co_u32_e32 v8, vcc, s2, v6
	v_addc_co_u32_e32 v9, vcc, v7, v9, vcc
	global_store_dwordx4 v[8:9], v[0:3], off
	global_load_dwordx4 v[0:3], v[4:5], off offset:1536
	ds_read_b128 v[4:7], v224 offset:17920
	s_waitcnt vmcnt(0) lgkmcnt(0)
	v_mul_f64 v[10:11], v[6:7], v[2:3]
	v_mul_f64 v[2:3], v[4:5], v[2:3]
	v_fma_f64 v[4:5], v[4:5], v[0:1], v[10:11]
	v_fma_f64 v[2:3], v[0:1], v[6:7], -v[2:3]
	v_mul_f64 v[0:1], v[4:5], s[0:1]
	v_mul_f64 v[2:3], v[2:3], s[0:1]
	v_mov_b32_e32 v5, s3
	v_add_co_u32_e32 v4, vcc, s2, v8
	v_addc_co_u32_e32 v5, vcc, v9, v5, vcc
	global_store_dwordx4 v[4:5], v[0:3], off
.LBB0_23:
	s_endpgm
	.section	.rodata,"a",@progbits
	.p2align	6, 0x0
	.amdhsa_kernel bluestein_single_fwd_len1190_dim1_dp_op_CI_CI
		.amdhsa_group_segment_fixed_size 57120
		.amdhsa_private_segment_fixed_size 624
		.amdhsa_kernarg_size 104
		.amdhsa_user_sgpr_count 6
		.amdhsa_user_sgpr_private_segment_buffer 1
		.amdhsa_user_sgpr_dispatch_ptr 0
		.amdhsa_user_sgpr_queue_ptr 0
		.amdhsa_user_sgpr_kernarg_segment_ptr 1
		.amdhsa_user_sgpr_dispatch_id 0
		.amdhsa_user_sgpr_flat_scratch_init 0
		.amdhsa_user_sgpr_private_segment_size 0
		.amdhsa_uses_dynamic_stack 0
		.amdhsa_system_sgpr_private_segment_wavefront_offset 1
		.amdhsa_system_sgpr_workgroup_id_x 1
		.amdhsa_system_sgpr_workgroup_id_y 0
		.amdhsa_system_sgpr_workgroup_id_z 0
		.amdhsa_system_sgpr_workgroup_info 0
		.amdhsa_system_vgpr_workitem_id 0
		.amdhsa_next_free_vgpr 256
		.amdhsa_next_free_sgpr 68
		.amdhsa_reserve_vcc 1
		.amdhsa_reserve_flat_scratch 0
		.amdhsa_float_round_mode_32 0
		.amdhsa_float_round_mode_16_64 0
		.amdhsa_float_denorm_mode_32 3
		.amdhsa_float_denorm_mode_16_64 3
		.amdhsa_dx10_clamp 1
		.amdhsa_ieee_mode 1
		.amdhsa_fp16_overflow 0
		.amdhsa_exception_fp_ieee_invalid_op 0
		.amdhsa_exception_fp_denorm_src 0
		.amdhsa_exception_fp_ieee_div_zero 0
		.amdhsa_exception_fp_ieee_overflow 0
		.amdhsa_exception_fp_ieee_underflow 0
		.amdhsa_exception_fp_ieee_inexact 0
		.amdhsa_exception_int_div_zero 0
	.end_amdhsa_kernel
	.text
.Lfunc_end0:
	.size	bluestein_single_fwd_len1190_dim1_dp_op_CI_CI, .Lfunc_end0-bluestein_single_fwd_len1190_dim1_dp_op_CI_CI
                                        ; -- End function
	.section	.AMDGPU.csdata,"",@progbits
; Kernel info:
; codeLenInByte = 32584
; NumSgprs: 72
; NumVgprs: 256
; ScratchSize: 624
; MemoryBound: 0
; FloatMode: 240
; IeeeMode: 1
; LDSByteSize: 57120 bytes/workgroup (compile time only)
; SGPRBlocks: 8
; VGPRBlocks: 63
; NumSGPRsForWavesPerEU: 72
; NumVGPRsForWavesPerEU: 256
; Occupancy: 1
; WaveLimiterHint : 1
; COMPUTE_PGM_RSRC2:SCRATCH_EN: 1
; COMPUTE_PGM_RSRC2:USER_SGPR: 6
; COMPUTE_PGM_RSRC2:TRAP_HANDLER: 0
; COMPUTE_PGM_RSRC2:TGID_X_EN: 1
; COMPUTE_PGM_RSRC2:TGID_Y_EN: 0
; COMPUTE_PGM_RSRC2:TGID_Z_EN: 0
; COMPUTE_PGM_RSRC2:TIDIG_COMP_CNT: 0
	.type	__hip_cuid_bf3781ab85269766,@object ; @__hip_cuid_bf3781ab85269766
	.section	.bss,"aw",@nobits
	.globl	__hip_cuid_bf3781ab85269766
__hip_cuid_bf3781ab85269766:
	.byte	0                               ; 0x0
	.size	__hip_cuid_bf3781ab85269766, 1

	.ident	"AMD clang version 19.0.0git (https://github.com/RadeonOpenCompute/llvm-project roc-6.4.0 25133 c7fe45cf4b819c5991fe208aaa96edf142730f1d)"
	.section	".note.GNU-stack","",@progbits
	.addrsig
	.addrsig_sym __hip_cuid_bf3781ab85269766
	.amdgpu_metadata
---
amdhsa.kernels:
  - .args:
      - .actual_access:  read_only
        .address_space:  global
        .offset:         0
        .size:           8
        .value_kind:     global_buffer
      - .actual_access:  read_only
        .address_space:  global
        .offset:         8
        .size:           8
        .value_kind:     global_buffer
      - .actual_access:  read_only
        .address_space:  global
        .offset:         16
        .size:           8
        .value_kind:     global_buffer
      - .actual_access:  read_only
        .address_space:  global
        .offset:         24
        .size:           8
        .value_kind:     global_buffer
      - .actual_access:  read_only
        .address_space:  global
        .offset:         32
        .size:           8
        .value_kind:     global_buffer
      - .offset:         40
        .size:           8
        .value_kind:     by_value
      - .address_space:  global
        .offset:         48
        .size:           8
        .value_kind:     global_buffer
      - .address_space:  global
        .offset:         56
        .size:           8
        .value_kind:     global_buffer
      - .address_space:  global
        .offset:         64
        .size:           8
        .value_kind:     global_buffer
      - .address_space:  global
        .offset:         72
        .size:           8
        .value_kind:     global_buffer
      - .offset:         80
        .size:           4
        .value_kind:     by_value
      - .address_space:  global
        .offset:         88
        .size:           8
        .value_kind:     global_buffer
      - .address_space:  global
        .offset:         96
        .size:           8
        .value_kind:     global_buffer
    .group_segment_fixed_size: 57120
    .kernarg_segment_align: 8
    .kernarg_segment_size: 104
    .language:       OpenCL C
    .language_version:
      - 2
      - 0
    .max_flat_workgroup_size: 255
    .name:           bluestein_single_fwd_len1190_dim1_dp_op_CI_CI
    .private_segment_fixed_size: 624
    .sgpr_count:     72
    .sgpr_spill_count: 0
    .symbol:         bluestein_single_fwd_len1190_dim1_dp_op_CI_CI.kd
    .uniform_work_group_size: 1
    .uses_dynamic_stack: false
    .vgpr_count:     256
    .vgpr_spill_count: 193
    .wavefront_size: 64
amdhsa.target:   amdgcn-amd-amdhsa--gfx906
amdhsa.version:
  - 1
  - 2
...

	.end_amdgpu_metadata
